;; amdgpu-corpus repo=ROCm/rocFFT kind=compiled arch=gfx1100 opt=O3
	.text
	.amdgcn_target "amdgcn-amd-amdhsa--gfx1100"
	.amdhsa_code_object_version 6
	.protected	bluestein_single_back_len1690_dim1_sp_op_CI_CI ; -- Begin function bluestein_single_back_len1690_dim1_sp_op_CI_CI
	.globl	bluestein_single_back_len1690_dim1_sp_op_CI_CI
	.p2align	8
	.type	bluestein_single_back_len1690_dim1_sp_op_CI_CI,@function
bluestein_single_back_len1690_dim1_sp_op_CI_CI: ; @bluestein_single_back_len1690_dim1_sp_op_CI_CI
; %bb.0:
	s_load_b128 s[4:7], s[0:1], 0x28
	v_mul_u32_u24_e32 v1, 0x184, v0
	s_mov_b32 s2, exec_lo
	v_mov_b32_e32 v69, 0
	s_delay_alu instid0(VALU_DEP_2) | instskip(NEXT) | instid1(VALU_DEP_1)
	v_lshrrev_b32_e32 v1, 16, v1
	v_add_nc_u32_e32 v68, s15, v1
	s_waitcnt lgkmcnt(0)
	s_delay_alu instid0(VALU_DEP_1)
	v_cmpx_gt_u64_e64 s[4:5], v[68:69]
	s_cbranch_execz .LBB0_23
; %bb.1:
	s_clause 0x1
	s_load_b64 s[14:15], s[0:1], 0x0
	s_load_b64 s[12:13], s[0:1], 0x38
	v_mul_lo_u16 v1, 0xa9, v1
	s_delay_alu instid0(VALU_DEP_1) | instskip(NEXT) | instid1(VALU_DEP_1)
	v_sub_nc_u16 v0, v0, v1
	v_and_b32_e32 v76, 0xffff, v0
	v_cmp_gt_u16_e32 vcc_lo, 0x82, v0
	s_delay_alu instid0(VALU_DEP_2)
	v_lshlrev_b32_e32 v75, 3, v76
	s_and_saveexec_b32 s3, vcc_lo
	s_cbranch_execz .LBB0_3
; %bb.2:
	s_load_b64 s[4:5], s[0:1], 0x18
	s_waitcnt lgkmcnt(0)
	v_add_co_u32 v18, s2, s14, v75
	s_delay_alu instid0(VALU_DEP_1)
	v_add_co_ci_u32_e64 v19, null, s15, 0, s2
	v_add_nc_u32_e32 v56, 0x1800, v75
	v_add_nc_u32_e32 v58, 0x2800, v75
	s_load_b128 s[8:11], s[4:5], 0x0
	s_clause 0x2
	global_load_b64 v[4:5], v75, s[14:15]
	global_load_b64 v[6:7], v75, s[14:15] offset:1040
	global_load_b64 v[8:9], v75, s[14:15] offset:2080
	s_waitcnt lgkmcnt(0)
	v_mad_u64_u32 v[0:1], null, s10, v68, 0
	v_mad_u64_u32 v[2:3], null, s8, v76, 0
	s_mul_i32 s4, s9, 0x410
	s_mul_hi_u32 s5, s8, 0x410
	s_delay_alu instid0(SALU_CYCLE_1) | instskip(NEXT) | instid1(VALU_DEP_1)
	s_add_i32 s5, s5, s4
	v_mad_u64_u32 v[10:11], null, s11, v68, v[1:2]
	global_load_b64 v[11:12], v75, s[14:15] offset:3120
	v_dual_mov_b32 v1, v10 :: v_dual_add_nc_u32 v10, 0x800, v75
	s_delay_alu instid0(VALU_DEP_1) | instskip(SKIP_3) | instid1(VALU_DEP_1)
	v_lshlrev_b64 v[0:1], 3, v[0:1]
	s_waitcnt vmcnt(3)
	v_mad_u64_u32 v[13:14], null, s9, v76, v[3:4]
	v_add_co_u32 v14, s2, 0x1000, v18
	v_add_co_ci_u32_e64 v15, s2, 0, v19, s2
	v_add_co_u32 v16, s2, 0x2000, v18
	s_delay_alu instid0(VALU_DEP_4) | instskip(SKIP_2) | instid1(VALU_DEP_1)
	v_mov_b32_e32 v3, v13
	v_add_co_ci_u32_e64 v17, s2, 0, v19, s2
	v_add_co_u32 v18, s2, 0x3000, v18
	v_add_co_ci_u32_e64 v19, s2, 0, v19, s2
	s_delay_alu instid0(VALU_DEP_4) | instskip(SKIP_1) | instid1(VALU_DEP_1)
	v_lshlrev_b64 v[2:3], 3, v[2:3]
	v_add_co_u32 v0, s2, s6, v0
	v_add_co_ci_u32_e64 v1, s2, s7, v1, s2
	s_mul_i32 s6, s8, 0x410
	s_delay_alu instid0(VALU_DEP_2) | instskip(NEXT) | instid1(VALU_DEP_1)
	v_add_co_u32 v0, s2, v0, v2
	v_add_co_ci_u32_e64 v1, s2, v1, v3, s2
	s_clause 0x3
	global_load_b64 v[20:21], v[14:15], off offset:64
	global_load_b64 v[22:23], v[14:15], off offset:1104
	;; [unrolled: 1-line block ×4, first 2 shown]
	v_add_co_u32 v2, s2, v0, s6
	s_delay_alu instid0(VALU_DEP_1)
	v_add_co_ci_u32_e64 v3, s2, s5, v1, s2
	s_clause 0x2
	global_load_b64 v[28:29], v[16:17], off offset:128
	global_load_b64 v[30:31], v[16:17], off offset:1168
	;; [unrolled: 1-line block ×3, first 2 shown]
	v_add_co_u32 v26, s2, v2, s6
	s_delay_alu instid0(VALU_DEP_1) | instskip(SKIP_2) | instid1(VALU_DEP_1)
	v_add_co_ci_u32_e64 v27, s2, s5, v3, s2
	global_load_b64 v[0:1], v[0:1], off
	v_add_co_u32 v34, s2, v26, s6
	v_add_co_ci_u32_e64 v35, s2, s5, v27, s2
	s_delay_alu instid0(VALU_DEP_2) | instskip(NEXT) | instid1(VALU_DEP_1)
	v_add_co_u32 v36, s2, v34, s6
	v_add_co_ci_u32_e64 v37, s2, s5, v35, s2
	s_clause 0x2
	global_load_b64 v[2:3], v[2:3], off
	global_load_b64 v[26:27], v[26:27], off
	;; [unrolled: 1-line block ×3, first 2 shown]
	v_add_co_u32 v38, s2, v36, s6
	s_delay_alu instid0(VALU_DEP_1) | instskip(SKIP_2) | instid1(VALU_DEP_1)
	v_add_co_ci_u32_e64 v39, s2, s5, v37, s2
	global_load_b64 v[36:37], v[36:37], off
	v_add_co_u32 v40, s2, v38, s6
	v_add_co_ci_u32_e64 v41, s2, s5, v39, s2
	global_load_b64 v[38:39], v[38:39], off
	v_add_co_u32 v42, s2, v40, s6
	s_delay_alu instid0(VALU_DEP_1) | instskip(SKIP_2) | instid1(VALU_DEP_1)
	v_add_co_ci_u32_e64 v43, s2, s5, v41, s2
	global_load_b64 v[40:41], v[40:41], off
	v_add_co_u32 v44, s2, v42, s6
	v_add_co_ci_u32_e64 v45, s2, s5, v43, s2
	global_load_b64 v[42:43], v[42:43], off
	;; [unrolled: 7-line block ×3, first 2 shown]
	v_add_co_u32 v50, s2, v48, s6
	s_delay_alu instid0(VALU_DEP_1) | instskip(SKIP_2) | instid1(VALU_DEP_1)
	v_add_co_ci_u32_e64 v51, s2, s5, v49, s2
	global_load_b64 v[48:49], v[48:49], off
	v_add_co_u32 v52, s2, v50, s6
	v_add_co_ci_u32_e64 v53, s2, s5, v51, s2
	global_load_b64 v[15:16], v[16:17], off offset:3248
	global_load_b64 v[50:51], v[50:51], off
	global_load_b64 v[17:18], v[18:19], off offset:192
	global_load_b64 v[52:53], v[52:53], off
	s_waitcnt vmcnt(14)
	v_dual_mul_f32 v54, v1, v5 :: v_dual_add_nc_u32 v19, 0x1000, v75
	v_mul_f32_e32 v55, v0, v5
	s_delay_alu instid0(VALU_DEP_2) | instskip(NEXT) | instid1(VALU_DEP_2)
	v_dual_fmac_f32 v54, v0, v4 :: v_dual_add_nc_u32 v57, 0x2000, v75
	v_fma_f32 v55, v1, v4, -v55
	s_waitcnt vmcnt(12)
	v_dual_mul_f32 v5, v3, v7 :: v_dual_mul_f32 v4, v26, v9
	v_dual_mul_f32 v1, v2, v7 :: v_dual_mul_f32 v0, v27, v9
	s_waitcnt vmcnt(11)
	v_mul_f32_e32 v7, v34, v12
	s_delay_alu instid0(VALU_DEP_3) | instskip(NEXT) | instid1(VALU_DEP_3)
	v_dual_fmac_f32 v5, v2, v6 :: v_dual_mul_f32 v2, v35, v12
	v_fma_f32 v6, v3, v6, -v1
	v_fmac_f32_e32 v0, v26, v8
	v_fma_f32 v1, v27, v8, -v4
	s_waitcnt vmcnt(10)
	v_mul_f32_e32 v4, v37, v21
	v_fmac_f32_e32 v2, v34, v11
	v_fma_f32 v3, v35, v11, -v7
	v_mul_f32_e32 v7, v36, v21
	ds_store_2addr_b64 v75, v[54:55], v[5:6] offset1:130
	s_waitcnt vmcnt(9)
	v_mul_f32_e32 v6, v39, v23
	v_fmac_f32_e32 v4, v36, v20
	ds_store_2addr_b64 v10, v[0:1], v[2:3] offset0:4 offset1:134
	v_mul_f32_e32 v1, v38, v23
	s_waitcnt vmcnt(8)
	v_mul_f32_e32 v3, v40, v25
	v_mul_f32_e32 v0, v41, v25
	v_fma_f32 v5, v37, v20, -v7
	s_waitcnt vmcnt(7)
	v_mul_f32_e32 v9, v42, v14
	v_mul_f32_e32 v2, v43, v14
	v_fmac_f32_e32 v6, v38, v22
	v_fma_f32 v7, v39, v22, -v1
	v_fma_f32 v1, v41, v24, -v3
	s_waitcnt vmcnt(6)
	v_mul_f32_e32 v8, v45, v29
	v_fma_f32 v3, v43, v13, -v9
	v_mul_f32_e32 v9, v44, v29
	v_fmac_f32_e32 v2, v42, v13
	s_waitcnt vmcnt(5)
	v_mul_f32_e32 v10, v47, v31
	v_dual_mul_f32 v11, v46, v31 :: v_dual_fmac_f32 v0, v40, v24
	v_fmac_f32_e32 v8, v44, v28
	v_fma_f32 v9, v45, v28, -v9
	s_waitcnt vmcnt(4)
	v_mul_f32_e32 v12, v49, v33
	v_dual_mul_f32 v13, v48, v33 :: v_dual_fmac_f32 v10, v46, v30
	s_waitcnt vmcnt(2)
	v_mul_f32_e32 v14, v51, v16
	v_mul_f32_e32 v20, v50, v16
	s_waitcnt vmcnt(0)
	v_mul_f32_e32 v16, v53, v18
	v_mul_f32_e32 v18, v52, v18
	v_fma_f32 v11, v47, v30, -v11
	v_fmac_f32_e32 v12, v48, v32
	v_fma_f32 v13, v49, v32, -v13
	v_fmac_f32_e32 v14, v50, v15
	;; [unrolled: 2-line block ×3, first 2 shown]
	v_fma_f32 v17, v53, v17, -v18
	ds_store_2addr_b64 v19, v[4:5], v[6:7] offset0:8 offset1:138
	ds_store_2addr_b64 v56, v[0:1], v[2:3] offset0:12 offset1:142
	;; [unrolled: 1-line block ×4, first 2 shown]
	ds_store_b64 v75, v[16:17] offset:12480
.LBB0_3:
	s_or_b32 exec_lo, exec_lo, s3
	s_load_b64 s[2:3], s[0:1], 0x20
	v_mov_b32_e32 v0, 0
	v_mov_b32_e32 v1, 0
	s_waitcnt lgkmcnt(0)
	s_barrier
	buffer_gl0_inv
                                        ; implicit-def: $vgpr14
                                        ; implicit-def: $vgpr8
                                        ; implicit-def: $vgpr4
                                        ; implicit-def: $vgpr24
                                        ; implicit-def: $vgpr18
                                        ; implicit-def: $vgpr22
	s_and_saveexec_b32 s4, vcc_lo
	s_cbranch_execz .LBB0_5
; %bb.4:
	v_add_nc_u32_e32 v4, 0x800, v75
	v_add_nc_u32_e32 v5, 0x1000, v75
	;; [unrolled: 1-line block ×5, first 2 shown]
	ds_load_2addr_b64 v[0:3], v75 offset1:130
	ds_load_2addr_b64 v[20:23], v4 offset0:4 offset1:134
	ds_load_2addr_b64 v[16:19], v5 offset0:8 offset1:138
	;; [unrolled: 1-line block ×5, first 2 shown]
	ds_load_b64 v[24:25], v75 offset:12480
.LBB0_5:
	s_or_b32 exec_lo, exec_lo, s4
	s_waitcnt lgkmcnt(0)
	v_dual_sub_f32 v70, v3, v25 :: v_dual_add_f32 v27, v25, v3
	v_sub_f32_e32 v74, v2, v24
	v_dual_sub_f32 v78, v20, v6 :: v_dual_sub_f32 v81, v23, v5
	s_delay_alu instid0(VALU_DEP_3) | instskip(SKIP_1) | instid1(VALU_DEP_4)
	v_mul_f32_e32 v59, 0xbf7e222b, v70
	v_dual_mul_f32 v50, 0xbf52af12, v70 :: v_dual_sub_f32 v73, v21, v7
	v_mul_f32_e32 v39, 0xbeedf032, v74
	v_mul_f32_e32 v52, 0xbf52af12, v74
	v_dual_mul_f32 v45, 0xbf52af12, v78 :: v_dual_sub_f32 v84, v17, v11
	v_sub_f32_e32 v85, v16, v10
	s_delay_alu instid0(VALU_DEP_4) | instskip(SKIP_2) | instid1(VALU_DEP_4)
	v_fma_f32 v29, 0x3f62ad3f, v27, -v39
	v_add_f32_e32 v26, v24, v2
	v_dual_mul_f32 v44, 0xbf52af12, v73 :: v_dual_sub_f32 v87, v18, v8
	v_mul_f32_e32 v62, 0x3f29c268, v85
	s_delay_alu instid0(VALU_DEP_4)
	v_add_f32_e32 v33, v29, v1
	v_add_f32_e32 v29, v7, v21
	v_fma_f32 v31, 0x3f116cb1, v27, -v52
	v_mul_f32_e32 v36, 0xbeedf032, v70
	v_fmamk_f32 v34, v26, 0x3df6dbef, v59
	v_dual_sub_f32 v86, v19, v9 :: v_dual_mul_f32 v67, 0x3f7e222b, v87
	s_delay_alu instid0(VALU_DEP_4) | instskip(SKIP_4) | instid1(VALU_DEP_3)
	v_add_f32_e32 v31, v31, v1
	v_fma_f32 v37, 0x3f116cb1, v29, -v45
	v_fmamk_f32 v28, v26, 0x3f62ad3f, v36
	v_mul_f32_e32 v55, 0xbf6f5d39, v78
	v_dual_mul_f32 v82, 0xbf52af12, v86 :: v_dual_mul_f32 v89, 0xbf52af12, v87
	v_dual_add_f32 v33, v37, v33 :: v_dual_add_f32 v32, v28, v0
	v_add_f32_e32 v28, v6, v20
	s_delay_alu instid0(VALU_DEP_4) | instskip(SKIP_4) | instid1(VALU_DEP_4)
	v_fma_f32 v40, 0xbeb58ec6, v29, -v55
	v_fmamk_f32 v30, v26, 0x3f116cb1, v50
	v_mul_f32_e32 v63, 0xbf7e222b, v74
	v_sub_f32_e32 v94, v12, v14
	v_fmamk_f32 v35, v28, 0x3f116cb1, v44
	v_dual_add_f32 v37, v40, v31 :: v_dual_add_f32 v30, v30, v0
	v_dual_mul_f32 v54, 0xbf6f5d39, v73 :: v_dual_add_f32 v31, v5, v23
	v_add_f32_e32 v34, v34, v0
	s_delay_alu instid0(VALU_DEP_4) | instskip(NEXT) | instid1(VALU_DEP_3)
	v_dual_add_f32 v32, v35, v32 :: v_dual_mul_f32 v69, 0xbe750f2a, v73
	v_dual_fmamk_f32 v38, v28, 0xbeb58ec6, v54 :: v_dual_sub_f32 v83, v22, v4
	v_mul_f32_e32 v56, 0xbe750f2a, v81
	v_fma_f32 v41, 0x3df6dbef, v27, -v63
	s_delay_alu instid0(VALU_DEP_3) | instskip(NEXT) | instid1(VALU_DEP_4)
	v_dual_sub_f32 v92, v13, v15 :: v_dual_add_f32 v35, v38, v30
	v_dual_add_f32 v30, v4, v22 :: v_dual_mul_f32 v47, 0xbf7e222b, v83
	v_mul_f32_e32 v57, 0xbe750f2a, v83
	v_fmamk_f32 v38, v28, 0xbf788fa5, v69
	s_load_b64 s[0:1], s[0:1], 0x8
	s_delay_alu instid0(VALU_DEP_3) | instskip(SKIP_3) | instid1(VALU_DEP_4)
	v_fmamk_f32 v43, v30, 0xbf788fa5, v56
	v_mul_f32_e32 v46, 0xbf7e222b, v81
	v_fma_f32 v42, 0x3df6dbef, v31, -v47
	v_fma_f32 v48, 0xbf788fa5, v31, -v57
	v_dual_add_f32 v34, v38, v34 :: v_dual_add_f32 v35, v43, v35
	s_delay_alu instid0(VALU_DEP_4) | instskip(SKIP_1) | instid1(VALU_DEP_4)
	v_fmamk_f32 v40, v30, 0x3df6dbef, v46
	v_mul_f32_e32 v49, 0xbf6f5d39, v85
	v_dual_add_f32 v37, v48, v37 :: v_dual_mul_f32 v48, 0xbf6f5d39, v84
	s_waitcnt lgkmcnt(0)
	s_delay_alu instid0(VALU_DEP_3)
	v_add_f32_e32 v38, v40, v32
	v_add_f32_e32 v32, v10, v16
	;; [unrolled: 1-line block ×4, first 2 shown]
	s_barrier
	buffer_gl0_inv
	v_add_f32_e32 v41, v41, v1
	v_mul_f32_e32 v95, 0xbe750f2a, v78
	v_fma_f32 v58, 0xbf3f9e67, v33, -v62
	v_fma_f32 v51, 0xbeb58ec6, v33, -v49
	v_mul_f32_e32 v93, 0x3f6f5d39, v83
	s_delay_alu instid0(VALU_DEP_3) | instskip(NEXT) | instid1(VALU_DEP_3)
	v_add_f32_e32 v37, v58, v37
	v_dual_fmamk_f32 v43, v32, 0xbeb58ec6, v48 :: v_dual_add_f32 v40, v51, v40
	v_mul_f32_e32 v51, 0xbf29c268, v86
	s_delay_alu instid0(VALU_DEP_2) | instskip(SKIP_1) | instid1(VALU_DEP_1)
	v_add_f32_e32 v38, v43, v38
	v_mul_f32_e32 v60, 0x3f29c268, v84
	v_fmamk_f32 v53, v32, 0xbf3f9e67, v60
	s_delay_alu instid0(VALU_DEP_1) | instskip(NEXT) | instid1(VALU_DEP_1)
	v_dual_mul_f32 v72, 0x3f6f5d39, v81 :: v_dual_add_f32 v43, v53, v35
	v_dual_add_f32 v35, v9, v19 :: v_dual_fmamk_f32 v42, v30, 0xbeb58ec6, v72
	v_mul_f32_e32 v80, 0x3eedf032, v84
	v_mul_f32_e32 v53, 0xbf29c268, v87
	s_delay_alu instid0(VALU_DEP_3) | instskip(NEXT) | instid1(VALU_DEP_4)
	v_fma_f32 v65, 0x3df6dbef, v35, -v67
	v_add_f32_e32 v42, v42, v34
	v_add_f32_e32 v34, v8, v18
	s_delay_alu instid0(VALU_DEP_4) | instskip(NEXT) | instid1(VALU_DEP_4)
	v_fma_f32 v64, 0xbf3f9e67, v35, -v53
	v_add_f32_e32 v96, v65, v37
	v_fma_f32 v65, 0xbf788fa5, v29, -v95
	v_dual_fmamk_f32 v58, v32, 0x3f62ad3f, v80 :: v_dual_add_f32 v37, v14, v12
	s_delay_alu instid0(VALU_DEP_4) | instskip(NEXT) | instid1(VALU_DEP_2)
	v_dual_fmamk_f32 v61, v34, 0xbf3f9e67, v51 :: v_dual_add_f32 v40, v64, v40
	v_dual_add_f32 v41, v65, v41 :: v_dual_add_f32 v42, v58, v42
	v_fma_f32 v65, 0xbeb58ec6, v31, -v93
	v_mul_f32_e32 v66, 0x3f7e222b, v86
	s_delay_alu instid0(VALU_DEP_4)
	v_add_f32_e32 v77, v61, v38
	v_mul_f32_e32 v61, 0xbe750f2a, v94
	v_mul_f32_e32 v71, 0x3eedf032, v92
	v_add_f32_e32 v41, v65, v41
	v_fma_f32 v65, 0x3f116cb1, v35, -v89
	v_fmamk_f32 v64, v34, 0x3f116cb1, v82
	v_fmamk_f32 v58, v34, 0x3df6dbef, v66
	v_dual_fmamk_f32 v99, v37, 0x3f62ad3f, v71 :: v_dual_add_f32 v38, v15, v13
	v_mul_f32_e32 v79, 0x3eedf032, v94
	s_delay_alu instid0(VALU_DEP_4) | instskip(NEXT) | instid1(VALU_DEP_4)
	v_add_f32_e32 v97, v64, v42
	v_add_f32_e32 v43, v58, v43
	v_mul_f32_e32 v91, 0x3eedf032, v85
	v_fma_f32 v98, 0xbf788fa5, v38, -v61
	v_fma_f32 v100, 0x3f62ad3f, v38, -v79
	v_mul_f32_e32 v90, 0xbf29c268, v94
	s_delay_alu instid0(VALU_DEP_4) | instskip(NEXT) | instid1(VALU_DEP_1)
	v_fma_f32 v64, 0x3f62ad3f, v33, -v91
	v_dual_mul_f32 v58, 0xbe750f2a, v92 :: v_dual_add_f32 v41, v64, v41
	s_delay_alu instid0(VALU_DEP_1) | instskip(NEXT) | instid1(VALU_DEP_2)
	v_fmamk_f32 v42, v37, 0xbf788fa5, v58
	v_add_f32_e32 v41, v65, v41
	v_add_f32_e32 v65, v98, v40
	s_delay_alu instid0(VALU_DEP_3) | instskip(SKIP_2) | instid1(VALU_DEP_1)
	v_add_f32_e32 v64, v42, v77
	v_dual_add_f32 v42, v99, v43 :: v_dual_add_f32 v43, v100, v96
	v_fma_f32 v101, 0xbf3f9e67, v38, -v90
	v_dual_mul_f32 v88, 0xbf29c268, v92 :: v_dual_add_f32 v41, v101, v41
	s_delay_alu instid0(VALU_DEP_1) | instskip(NEXT) | instid1(VALU_DEP_1)
	v_fmamk_f32 v77, v37, 0xbf3f9e67, v88
	v_add_f32_e32 v40, v77, v97
	v_mul_lo_u16 v77, v76, 13
	s_and_saveexec_b32 s4, vcc_lo
	s_cbranch_execz .LBB0_7
; %bb.6:
	v_mul_f32_e32 v107, 0x3f52af12, v84
	v_mul_f32_e32 v117, 0x3f7e222b, v73
	v_dual_mul_f32 v115, 0xbf52af12, v83 :: v_dual_mul_f32 v120, 0xbf52af12, v81
	v_mul_f32_e32 v128, 0x3f29c268, v73
	s_delay_alu instid0(VALU_DEP_4)
	v_fma_f32 v114, 0x3f116cb1, v32, -v107
	v_mul_f32_e32 v104, 0xbe750f2a, v70
	v_fma_f32 v119, 0x3df6dbef, v28, -v117
	v_mul_f32_e32 v121, 0x3e750f2a, v85
	v_fma_f32 v129, 0xbf3f9e67, v28, -v128
	v_dual_mul_f32 v123, 0x3eedf032, v87 :: v_dual_mul_f32 v124, 0x3eedf032, v86
	v_fma_f32 v109, 0xbf788fa5, v26, -v104
	v_mul_f32_e32 v98, 0xbe750f2a, v74
	v_mul_f32_e32 v127, 0xbf6f5d39, v74
	;; [unrolled: 1-line block ×4, first 2 shown]
	s_delay_alu instid0(VALU_DEP_4) | instskip(SKIP_1) | instid1(VALU_DEP_3)
	v_dual_add_f32 v109, v109, v0 :: v_dual_fmamk_f32 v96, v27, 0xbf788fa5, v98
	v_mul_f32_e32 v99, 0x3eedf032, v78
	v_fma_f32 v125, 0x3df6dbef, v37, -v118
	v_fmac_f32_e32 v118, 0x3df6dbef, v37
	s_delay_alu instid0(VALU_DEP_3) | instskip(SKIP_1) | instid1(VALU_DEP_2)
	v_dual_add_f32 v96, v96, v1 :: v_dual_fmamk_f32 v97, v29, 0x3f62ad3f, v99
	v_mul_f32_e32 v101, 0x3f52af12, v85
	v_dual_mul_f32 v85, 0xbf7e222b, v85 :: v_dual_add_f32 v96, v97, v96
	s_delay_alu instid0(VALU_DEP_2) | instskip(SKIP_1) | instid1(VALU_DEP_1)
	v_fmamk_f32 v97, v33, 0x3f116cb1, v101
	v_mul_f32_e32 v105, 0x3eedf032, v73
	v_fma_f32 v111, 0x3f62ad3f, v28, -v105
	v_mul_f32_e32 v100, 0xbf29c268, v83
	v_mul_f32_e32 v83, 0x3eedf032, v83
	s_delay_alu instid0(VALU_DEP_3) | instskip(NEXT) | instid1(VALU_DEP_3)
	v_add_f32_e32 v109, v111, v109
	v_fmamk_f32 v108, v31, 0xbf3f9e67, v100
	v_mul_f32_e32 v103, 0x3f7e222b, v94
	v_mul_f32_e32 v111, 0x3f7e222b, v78
	;; [unrolled: 1-line block ×3, first 2 shown]
	s_delay_alu instid0(VALU_DEP_4) | instskip(SKIP_3) | instid1(VALU_DEP_3)
	v_add_f32_e32 v96, v108, v96
	v_mul_f32_e32 v108, 0xbf29c268, v74
	v_fmamk_f32 v122, v38, 0x3df6dbef, v103
	v_mul_f32_e32 v106, 0xbf29c268, v81
	v_dual_add_f32 v96, v97, v96 :: v_dual_fmamk_f32 v97, v27, 0xbf3f9e67, v108
	v_fmac_f32_e32 v105, 0x3f62ad3f, v28
	s_delay_alu instid0(VALU_DEP_3) | instskip(SKIP_3) | instid1(VALU_DEP_4)
	v_fma_f32 v113, 0xbf3f9e67, v30, -v106
	v_mul_f32_e32 v102, 0xbf6f5d39, v87
	v_mul_f32_e32 v87, 0x3e750f2a, v87
	v_add_f32_e32 v97, v97, v1
	v_add_f32_e32 v109, v113, v109
	v_fmamk_f32 v113, v29, 0x3df6dbef, v111
	s_delay_alu instid0(VALU_DEP_2) | instskip(NEXT) | instid1(VALU_DEP_2)
	v_add_f32_e32 v109, v114, v109
	v_add_f32_e32 v97, v113, v97
	v_fmamk_f32 v113, v31, 0x3f116cb1, v115
	v_mul_f32_e32 v110, 0xbf6f5d39, v86
	v_mul_f32_e32 v86, 0x3e750f2a, v86
	v_dual_fmamk_f32 v131, v35, 0xbf788fa5, v87 :: v_dual_fmac_f32 v104, 0xbf788fa5, v26
	s_delay_alu instid0(VALU_DEP_4) | instskip(SKIP_4) | instid1(VALU_DEP_4)
	v_add_f32_e32 v97, v113, v97
	v_fmamk_f32 v113, v33, 0xbf788fa5, v121
	v_fmamk_f32 v112, v35, 0xbeb58ec6, v102
	v_fma_f32 v132, 0xbf788fa5, v34, -v86
	v_fma_f32 v114, 0xbeb58ec6, v34, -v110
	v_dual_fmac_f32 v86, 0xbf788fa5, v34 :: v_dual_add_f32 v113, v113, v97
	s_delay_alu instid0(VALU_DEP_2) | instskip(SKIP_1) | instid1(VALU_DEP_2)
	v_dual_add_f32 v96, v112, v96 :: v_dual_add_f32 v109, v114, v109
	v_fmamk_f32 v81, v31, 0x3f62ad3f, v83
	v_dual_fmac_f32 v110, 0xbeb58ec6, v34 :: v_dual_add_f32 v97, v122, v96
	v_fmamk_f32 v96, v27, 0xbeb58ec6, v127
	v_mul_f32_e32 v112, 0xbf29c268, v70
	s_delay_alu instid0(VALU_DEP_2) | instskip(NEXT) | instid1(VALU_DEP_2)
	v_dual_fmac_f32 v106, 0xbf3f9e67, v30 :: v_dual_add_f32 v73, v96, v1
	v_fma_f32 v116, 0xbf3f9e67, v26, -v112
	v_fmamk_f32 v96, v29, 0xbf3f9e67, v78
	v_fmamk_f32 v126, v35, 0x3f62ad3f, v123
	v_fmac_f32_e32 v112, 0xbf3f9e67, v26
	s_delay_alu instid0(VALU_DEP_4) | instskip(NEXT) | instid1(VALU_DEP_4)
	v_add_f32_e32 v116, v116, v0
	v_add_f32_e32 v73, v96, v73
	s_delay_alu instid0(VALU_DEP_4) | instskip(SKIP_1) | instid1(VALU_DEP_3)
	v_add_f32_e32 v74, v126, v113
	v_mul_f32_e32 v122, 0xbf6f5d39, v94
	v_dual_add_f32 v114, v119, v116 :: v_dual_add_f32 v73, v81, v73
	v_fma_f32 v116, 0x3f116cb1, v30, -v120
	v_mul_f32_e32 v119, 0x3e750f2a, v84
	v_mul_f32_e32 v84, 0xbf7e222b, v84
	v_fmamk_f32 v81, v33, 0x3df6dbef, v85
	v_fmac_f32_e32 v120, 0x3f116cb1, v30
	v_add_f32_e32 v114, v116, v114
	v_fma_f32 v116, 0xbf788fa5, v32, -v119
	v_fmac_f32_e32 v107, 0x3f116cb1, v32
	s_delay_alu instid0(VALU_DEP_2) | instskip(SKIP_2) | instid1(VALU_DEP_2)
	v_dual_add_f32 v81, v81, v73 :: v_dual_add_f32 v114, v116, v114
	v_fma_f32 v116, 0x3f62ad3f, v34, -v124
	v_fmac_f32_e32 v124, 0x3f62ad3f, v34
	v_add_f32_e32 v113, v116, v114
	v_mul_f32_e32 v114, 0xbf6f5d39, v70
	v_mul_f32_e32 v116, 0xbf6f5d39, v92
	s_delay_alu instid0(VALU_DEP_2) | instskip(SKIP_1) | instid1(VALU_DEP_2)
	v_fma_f32 v126, 0xbeb58ec6, v26, -v114
	v_fmac_f32_e32 v114, 0xbeb58ec6, v26
	v_add_f32_e32 v126, v126, v0
	s_delay_alu instid0(VALU_DEP_1)
	v_dual_fmac_f32 v117, 0x3df6dbef, v28 :: v_dual_add_f32 v96, v129, v126
	v_fma_f32 v126, 0x3f62ad3f, v30, -v130
	v_fma_f32 v129, 0xbeb58ec6, v37, -v116
	v_fmamk_f32 v70, v38, 0xbeb58ec6, v122
	v_fmac_f32_e32 v130, 0x3f62ad3f, v30
	v_fmac_f32_e32 v116, 0xbeb58ec6, v37
	s_delay_alu instid0(VALU_DEP_4) | instskip(SKIP_4) | instid1(VALU_DEP_4)
	v_dual_add_f32 v96, v126, v96 :: v_dual_add_f32 v73, v129, v113
	v_fma_f32 v126, 0x3df6dbef, v32, -v84
	v_add_f32_e32 v74, v70, v74
	v_dual_add_f32 v70, v131, v81 :: v_dual_mul_f32 v113, 0x3df6dbef, v26
	v_fmac_f32_e32 v84, 0x3df6dbef, v32
	v_add_f32_e32 v126, v126, v96
	v_dual_add_f32 v96, v125, v109 :: v_dual_mul_f32 v109, 0x3df6dbef, v27
	s_delay_alu instid0(VALU_DEP_4) | instskip(NEXT) | instid1(VALU_DEP_3)
	v_dual_sub_f32 v59, v113, v59 :: v_dual_fmac_f32 v128, 0xbf3f9e67, v28
	v_dual_add_f32 v81, v132, v126 :: v_dual_mul_f32 v126, 0xbf788fa5, v28
	s_delay_alu instid0(VALU_DEP_3) | instskip(SKIP_1) | instid1(VALU_DEP_4)
	v_dual_add_f32 v63, v63, v109 :: v_dual_mul_f32 v94, 0x3f52af12, v94
	v_mul_f32_e32 v92, 0x3f52af12, v92
	v_add_f32_e32 v59, v59, v0
	s_delay_alu instid0(VALU_DEP_4) | instskip(NEXT) | instid1(VALU_DEP_4)
	v_sub_f32_e32 v69, v126, v69
	v_add_f32_e32 v63, v63, v1
	v_fmamk_f32 v109, v38, 0x3f116cb1, v94
	v_mul_f32_e32 v125, 0xbf788fa5, v29
	s_delay_alu instid0(VALU_DEP_4) | instskip(NEXT) | instid1(VALU_DEP_2)
	v_add_f32_e32 v59, v69, v59
	v_dual_add_f32 v70, v109, v70 :: v_dual_add_f32 v95, v95, v125
	v_mul_f32_e32 v125, 0xbeb58ec6, v30
	s_delay_alu instid0(VALU_DEP_2) | instskip(NEXT) | instid1(VALU_DEP_2)
	v_add_f32_e32 v63, v95, v63
	v_sub_f32_e32 v69, v125, v72
	s_delay_alu instid0(VALU_DEP_1) | instskip(NEXT) | instid1(VALU_DEP_1)
	v_dual_mul_f32 v72, 0x3f62ad3f, v32 :: v_dual_add_f32 v59, v69, v59
	v_dual_sub_f32 v69, v72, v80 :: v_dual_mul_f32 v72, 0x3f116cb1, v34
	v_mul_f32_e32 v113, 0xbeb58ec6, v31
	s_delay_alu instid0(VALU_DEP_2) | instskip(SKIP_1) | instid1(VALU_DEP_3)
	v_dual_add_f32 v59, v69, v59 :: v_dual_sub_f32 v72, v72, v82
	v_mul_f32_e32 v82, 0xbf3f9e67, v37
	v_add_f32_e32 v93, v93, v113
	v_mul_f32_e32 v69, 0xbf3f9e67, v38
	s_delay_alu instid0(VALU_DEP_3) | instskip(SKIP_3) | instid1(VALU_DEP_2)
	v_dual_add_f32 v59, v72, v59 :: v_dual_sub_f32 v72, v82, v88
	v_mul_f32_e32 v95, 0x3f62ad3f, v33
	v_mul_f32_e32 v82, 0x3f116cb1, v27
	v_add_f32_e32 v63, v93, v63
	v_dual_mul_f32 v93, 0x3f116cb1, v35 :: v_dual_add_f32 v52, v52, v82
	s_delay_alu instid0(VALU_DEP_1) | instskip(SKIP_2) | instid1(VALU_DEP_3)
	v_dual_add_f32 v91, v91, v95 :: v_dual_add_f32 v80, v89, v93
	v_fma_f32 v89, 0x3f116cb1, v37, -v92
	v_fmac_f32_e32 v92, 0x3f116cb1, v37
	v_dual_add_f32 v52, v52, v1 :: v_dual_add_f32 v63, v91, v63
	s_delay_alu instid0(VALU_DEP_1) | instskip(NEXT) | instid1(VALU_DEP_4)
	v_dual_add_f32 v63, v80, v63 :: v_dual_add_f32 v80, v90, v69
	v_add_f32_e32 v69, v89, v81
	s_delay_alu instid0(VALU_DEP_2) | instskip(SKIP_1) | instid1(VALU_DEP_1)
	v_add_f32_e32 v81, v80, v63
	v_dual_add_f32 v80, v72, v59 :: v_dual_mul_f32 v59, 0xbeb58ec6, v29
	v_dual_mul_f32 v72, 0xbeb58ec6, v28 :: v_dual_add_f32 v55, v55, v59
	s_delay_alu instid0(VALU_DEP_1) | instskip(SKIP_1) | instid1(VALU_DEP_2)
	v_dual_mul_f32 v59, 0xbf788fa5, v31 :: v_dual_sub_f32 v54, v72, v54
	v_mul_f32_e32 v72, 0x3f62ad3f, v27
	v_dual_add_f32 v52, v55, v52 :: v_dual_add_f32 v57, v57, v59
	v_mul_f32_e32 v55, 0xbf788fa5, v30
	s_delay_alu instid0(VALU_DEP_3) | instskip(SKIP_1) | instid1(VALU_DEP_4)
	v_add_f32_e32 v39, v39, v72
	v_add_f32_e32 v72, v2, v0
	v_dual_add_f32 v52, v57, v52 :: v_dual_mul_f32 v63, 0x3f116cb1, v26
	s_delay_alu instid0(VALU_DEP_4) | instskip(NEXT) | instid1(VALU_DEP_3)
	v_sub_f32_e32 v55, v55, v56
	v_add_f32_e32 v20, v20, v72
	v_mul_f32_e32 v56, 0x3f116cb1, v29
	s_delay_alu instid0(VALU_DEP_4) | instskip(NEXT) | instid1(VALU_DEP_3)
	v_sub_f32_e32 v50, v63, v50
	v_add_f32_e32 v20, v22, v20
	s_delay_alu instid0(VALU_DEP_2) | instskip(NEXT) | instid1(VALU_DEP_2)
	v_add_f32_e32 v50, v50, v0
	v_dual_add_f32 v16, v16, v20 :: v_dual_add_f32 v3, v3, v1
	s_delay_alu instid0(VALU_DEP_2) | instskip(SKIP_1) | instid1(VALU_DEP_3)
	v_add_f32_e32 v50, v54, v50
	v_mul_f32_e32 v54, 0xbf3f9e67, v33
	v_dual_add_f32 v16, v18, v16 :: v_dual_add_f32 v21, v21, v3
	s_delay_alu instid0(VALU_DEP_2) | instskip(NEXT) | instid1(VALU_DEP_2)
	v_add_f32_e32 v54, v62, v54
	v_dual_add_f32 v12, v12, v16 :: v_dual_add_f32 v21, v23, v21
	v_add_f32_e32 v23, v39, v1
	v_add_f32_e32 v39, v45, v56
	s_delay_alu instid0(VALU_DEP_4)
	v_add_f32_e32 v52, v54, v52
	v_mul_f32_e32 v54, 0x3df6dbef, v34
	v_mul_f32_e32 v59, 0x3f116cb1, v28
	v_add_f32_e32 v12, v14, v12
	v_add_f32_e32 v22, v39, v23
	v_mul_f32_e32 v62, 0x3df6dbef, v30
	v_dual_sub_f32 v54, v54, v66 :: v_dual_mul_f32 v57, 0xbf3f9e67, v32
	v_mul_f32_e32 v66, 0xbeb58ec6, v33
	v_sub_f32_e32 v20, v59, v44
	s_delay_alu instid0(VALU_DEP_3) | instskip(SKIP_1) | instid1(VALU_DEP_1)
	v_dual_sub_f32 v57, v57, v60 :: v_dual_mul_f32 v60, 0x3df6dbef, v31
	v_dual_add_f32 v50, v55, v50 :: v_dual_mul_f32 v55, 0x3df6dbef, v35
	v_dual_add_f32 v23, v47, v60 :: v_dual_add_f32 v50, v57, v50
	v_mul_f32_e32 v57, 0x3f62ad3f, v38
	s_delay_alu instid0(VALU_DEP_2) | instskip(NEXT) | instid1(VALU_DEP_2)
	v_dual_add_f32 v55, v67, v55 :: v_dual_add_f32 v50, v54, v50
	v_dual_mul_f32 v54, 0xbf3f9e67, v34 :: v_dual_add_f32 v57, v79, v57
	s_delay_alu instid0(VALU_DEP_2) | instskip(SKIP_1) | instid1(VALU_DEP_1)
	v_dual_mul_f32 v63, 0x3f62ad3f, v26 :: v_dual_add_f32 v52, v55, v52
	v_mul_f32_e32 v55, 0x3f62ad3f, v37
	v_sub_f32_e32 v55, v55, v71
	v_mul_f32_e32 v71, 0xbf3f9e67, v35
	s_delay_alu instid0(VALU_DEP_2) | instskip(SKIP_1) | instid1(VALU_DEP_3)
	v_dual_mul_f32 v67, 0xbeb58ec6, v32 :: v_dual_add_f32 v2, v55, v50
	v_mul_f32_e32 v50, 0xbf788fa5, v37
	v_add_f32_e32 v16, v53, v71
	v_add_f32_e32 v17, v17, v21
	s_delay_alu instid0(VALU_DEP_1) | instskip(NEXT) | instid1(VALU_DEP_1)
	v_add_f32_e32 v17, v19, v17
	v_add_f32_e32 v13, v13, v17
	;; [unrolled: 1-line block ×3, first 2 shown]
	s_delay_alu instid0(VALU_DEP_2) | instskip(NEXT) | instid1(VALU_DEP_1)
	v_add_f32_e32 v13, v15, v13
	v_add_f32_e32 v9, v9, v13
	s_delay_alu instid0(VALU_DEP_1) | instskip(SKIP_1) | instid1(VALU_DEP_2)
	v_add_f32_e32 v9, v11, v9
	v_add_f32_e32 v11, v8, v12
	;; [unrolled: 1-line block ×3, first 2 shown]
	s_delay_alu instid0(VALU_DEP_2) | instskip(SKIP_2) | instid1(VALU_DEP_3)
	v_add_f32_e32 v9, v10, v11
	v_sub_f32_e32 v21, v63, v36
	v_fma_f32 v10, 0xbf788fa5, v27, -v98
	v_add_f32_e32 v4, v4, v9
	s_delay_alu instid0(VALU_DEP_2) | instskip(SKIP_2) | instid1(VALU_DEP_4)
	v_add_f32_e32 v9, v10, v1
	v_fma_f32 v10, 0x3f62ad3f, v29, -v99
	v_add_f32_e32 v19, v21, v0
	v_dual_add_f32 v21, v23, v22 :: v_dual_add_f32 v4, v6, v4
	s_delay_alu instid0(VALU_DEP_3) | instskip(SKIP_1) | instid1(VALU_DEP_4)
	v_add_f32_e32 v6, v10, v9
	v_add_f32_e32 v10, v104, v0
	v_dual_add_f32 v18, v20, v19 :: v_dual_sub_f32 v19, v62, v46
	v_fma_f32 v9, 0xbf3f9e67, v31, -v100
	v_add_f32_e32 v15, v17, v21
	s_delay_alu instid0(VALU_DEP_4) | instskip(NEXT) | instid1(VALU_DEP_4)
	v_dual_sub_f32 v13, v67, v48 :: v_dual_add_f32 v10, v105, v10
	v_add_f32_e32 v17, v19, v18
	s_delay_alu instid0(VALU_DEP_4)
	v_add_f32_e32 v6, v9, v6
	v_fma_f32 v9, 0x3f116cb1, v33, -v101
	v_mul_f32_e32 v45, 0xbf788fa5, v38
	v_add_f32_e32 v10, v106, v10
	v_add_f32_e32 v12, v13, v17
	v_dual_add_f32 v3, v57, v52 :: v_dual_add_f32 v14, v16, v15
	v_add_f32_e32 v6, v9, v6
	v_fma_f32 v9, 0xbeb58ec6, v35, -v102
	v_sub_f32_e32 v13, v54, v51
	v_dual_add_f32 v15, v61, v45 :: v_dual_add_f32 v4, v24, v4
	s_delay_alu instid0(VALU_DEP_3) | instskip(NEXT) | instid1(VALU_DEP_3)
	v_add_f32_e32 v6, v9, v6
	v_dual_add_f32 v11, v13, v12 :: v_dual_sub_f32 v12, v50, v58
	v_fma_f32 v9, 0x3df6dbef, v38, -v103
	v_add_f32_e32 v5, v7, v5
	v_add_f32_e32 v13, v107, v10
	s_delay_alu instid0(VALU_DEP_4) | instskip(SKIP_4) | instid1(VALU_DEP_4)
	v_dual_add_f32 v8, v15, v14 :: v_dual_add_f32 v7, v12, v11
	v_fma_f32 v11, 0xbf3f9e67, v27, -v108
	v_fma_f32 v12, 0x3df6dbef, v29, -v111
	v_add_f32_e32 v10, v9, v6
	v_dual_add_f32 v6, v110, v13 :: v_dual_add_f32 v13, v112, v0
	v_dual_add_f32 v0, v114, v0 :: v_dual_add_f32 v11, v11, v1
	v_fma_f32 v15, 0x3f116cb1, v38, -v94
	v_fmac_f32_e32 v119, 0xbf788fa5, v32
	v_and_b32_e32 v14, 0xffff, v77
	s_delay_alu instid0(VALU_DEP_4) | instskip(SKIP_2) | instid1(VALU_DEP_4)
	v_add_f32_e32 v0, v128, v0
	v_add_f32_e32 v11, v12, v11
	v_fma_f32 v12, 0x3f116cb1, v31, -v115
	v_lshlrev_b32_e32 v14, 3, v14
	s_delay_alu instid0(VALU_DEP_2) | instskip(SKIP_1) | instid1(VALU_DEP_2)
	v_dual_add_f32 v0, v130, v0 :: v_dual_add_f32 v11, v12, v11
	v_fma_f32 v12, 0xbf788fa5, v33, -v121
	v_add_f32_e32 v0, v84, v0
	s_delay_alu instid0(VALU_DEP_2) | instskip(SKIP_1) | instid1(VALU_DEP_1)
	v_add_f32_e32 v11, v12, v11
	v_fma_f32 v12, 0x3f62ad3f, v35, -v123
	v_dual_add_f32 v11, v12, v11 :: v_dual_add_f32 v12, v117, v13
	v_add_f32_e32 v5, v25, v5
	v_fma_f32 v13, 0xbeb58ec6, v38, -v122
	v_add_f32_e32 v16, v86, v0
	s_delay_alu instid0(VALU_DEP_4) | instskip(NEXT) | instid1(VALU_DEP_1)
	v_add_f32_e32 v12, v120, v12
	v_dual_add_f32 v12, v119, v12 :: v_dual_add_f32 v9, v118, v6
	v_fma_f32 v6, 0xbeb58ec6, v27, -v127
	s_delay_alu instid0(VALU_DEP_1) | instskip(SKIP_1) | instid1(VALU_DEP_1)
	v_dual_add_f32 v12, v124, v12 :: v_dual_add_f32 v1, v6, v1
	v_fma_f32 v6, 0xbf3f9e67, v29, -v78
	v_dual_add_f32 v0, v116, v12 :: v_dual_add_f32 v1, v6, v1
	v_fma_f32 v6, 0x3f62ad3f, v31, -v83
	s_delay_alu instid0(VALU_DEP_1) | instskip(SKIP_1) | instid1(VALU_DEP_1)
	v_add_f32_e32 v1, v6, v1
	v_fma_f32 v6, 0x3df6dbef, v33, -v85
	v_add_f32_e32 v1, v6, v1
	v_fma_f32 v6, 0xbf788fa5, v35, -v87
	s_delay_alu instid0(VALU_DEP_1) | instskip(NEXT) | instid1(VALU_DEP_1)
	v_dual_add_f32 v6, v6, v1 :: v_dual_add_f32 v1, v13, v11
	v_dual_add_f32 v11, v92, v16 :: v_dual_add_f32 v12, v15, v6
	ds_store_2addr_b64 v14, v[4:5], v[7:8] offset1:1
	ds_store_2addr_b64 v14, v[2:3], v[80:81] offset0:2 offset1:3
	ds_store_2addr_b64 v14, v[69:70], v[73:74] offset0:4 offset1:5
	;; [unrolled: 1-line block ×5, first 2 shown]
	ds_store_b64 v14, v[64:65] offset:96
.LBB0_7:
	s_or_b32 exec_lo, exec_lo, s4
	v_and_b32_e32 v0, 0xff, v76
	s_load_b128 s[4:7], s[2:3], 0x0
	s_waitcnt lgkmcnt(0)
	s_barrier
	buffer_gl0_inv
	v_mul_lo_u16 v0, 0x4f, v0
	s_delay_alu instid0(VALU_DEP_1) | instskip(NEXT) | instid1(VALU_DEP_1)
	v_lshrrev_b16 v10, 10, v0
	v_mul_lo_u16 v0, v10, 13
	s_delay_alu instid0(VALU_DEP_1) | instskip(NEXT) | instid1(VALU_DEP_1)
	v_sub_nc_u16 v0, v76, v0
	v_and_b32_e32 v11, 0xff, v0
	s_delay_alu instid0(VALU_DEP_1)
	v_mad_u64_u32 v[4:5], null, 0x48, v11, s[0:1]
	s_clause 0x4
	global_load_b128 v[20:23], v[4:5], off
	global_load_b128 v[16:19], v[4:5], off offset:16
	global_load_b128 v[12:15], v[4:5], off offset:32
	;; [unrolled: 1-line block ×3, first 2 shown]
	global_load_b64 v[69:70], v[4:5], off offset:64
	v_add_nc_u32_e32 v4, 0x800, v75
	ds_load_2addr_b64 v[6:9], v75 offset1:169
	ds_load_2addr_b64 v[24:27], v4 offset0:82 offset1:251
	v_add_nc_u32_e32 v5, 0x1400, v75
	s_waitcnt vmcnt(4) lgkmcnt(0)
	v_dual_mul_f32 v45, v24, v23 :: v_dual_and_b32 v10, 0xffff, v10
	s_waitcnt vmcnt(3)
	v_mul_f32_e32 v46, v27, v17
	ds_load_2addr_b64 v[28:31], v5 offset0:36 offset1:205
	v_add_nc_u32_e32 v32, 0x1e00, v75
	v_add_nc_u32_e32 v5, 0x2800, v75
	v_mul_u32_u24_e32 v10, 0x82, v10
	v_mul_f32_e32 v47, v26, v17
	s_delay_alu instid0(VALU_DEP_2) | instskip(SKIP_2) | instid1(VALU_DEP_4)
	v_add_lshl_u32 v78, v10, v11, 3
	v_mul_f32_e32 v10, v9, v21
	v_mul_f32_e32 v11, v8, v21
	v_fmac_f32_e32 v47, v27, v16
	s_delay_alu instid0(VALU_DEP_3)
	v_fma_f32 v8, v8, v20, -v10
	v_fma_f32 v10, v26, v16, -v46
	s_waitcnt vmcnt(2) lgkmcnt(0)
	v_mul_f32_e32 v50, v31, v13
	v_mul_f32_e32 v51, v30, v13
	ds_load_2addr_b64 v[32:35], v32 offset0:54 offset1:223
	ds_load_2addr_b64 v[36:39], v5 offset0:72 offset1:241
	v_mul_f32_e32 v44, v25, v23
	v_mul_f32_e32 v48, v29, v19
	;; [unrolled: 1-line block ×3, first 2 shown]
	v_fmac_f32_e32 v51, v31, v12
	s_waitcnt vmcnt(0) lgkmcnt(0)
	s_barrier
	buffer_gl0_inv
	v_sub_f32_e32 v79, v47, v51
	v_mul_f32_e32 v54, v35, v1
	v_mul_f32_e32 v52, v33, v15
	v_dual_mul_f32 v53, v32, v15 :: v_dual_mul_f32 v58, v39, v70
	v_dual_mul_f32 v55, v34, v1 :: v_dual_mul_f32 v56, v37, v3
	v_mul_f32_e32 v59, v38, v70
	s_delay_alu instid0(VALU_DEP_4)
	v_fma_f32 v26, v32, v14, -v52
	v_fmac_f32_e32 v11, v9, v20
	v_fma_f32 v9, v24, v22, -v44
	v_fma_f32 v24, v28, v18, -v48
	v_mul_f32_e32 v57, v36, v3
	v_fma_f32 v27, v34, v0, -v54
	v_fma_f32 v28, v36, v2, -v56
	v_fmac_f32_e32 v45, v25, v22
	v_fma_f32 v25, v30, v12, -v50
	v_fmac_f32_e32 v53, v33, v14
	v_dual_fmac_f32 v59, v39, v69 :: v_dual_sub_f32 v34, v9, v24
	v_fmac_f32_e32 v49, v29, v18
	v_fma_f32 v29, v38, v69, -v58
	v_add_f32_e32 v30, v6, v9
	s_delay_alu instid0(VALU_DEP_4)
	v_dual_sub_f32 v60, v47, v59 :: v_dual_fmac_f32 v57, v37, v2
	v_dual_add_f32 v31, v24, v26 :: v_dual_add_f32 v36, v9, v28
	v_dual_sub_f32 v37, v24, v9 :: v_dual_add_f32 v58, v25, v27
	v_dual_sub_f32 v38, v26, v28 :: v_dual_add_f32 v39, v7, v45
	v_sub_f32_e32 v74, v25, v27
	v_add_f32_e32 v56, v8, v10
	v_sub_f32_e32 v62, v10, v25
	v_sub_f32_e32 v33, v49, v53
	v_add_f32_e32 v44, v49, v53
	v_dual_add_f32 v66, v10, v29 :: v_dual_fmac_f32 v55, v35, v0
	v_dual_sub_f32 v32, v45, v57 :: v_dual_sub_f32 v35, v28, v26
	v_dual_sub_f32 v46, v24, v26 :: v_dual_sub_f32 v9, v9, v28
	v_add_f32_e32 v72, v11, v47
	s_delay_alu instid0(VALU_DEP_4)
	v_dual_sub_f32 v48, v45, v49 :: v_dual_sub_f32 v61, v51, v55
	v_dual_sub_f32 v50, v57, v53 :: v_dual_add_f32 v73, v51, v55
	v_add_f32_e32 v52, v45, v57
	v_dual_sub_f32 v45, v49, v45 :: v_dual_sub_f32 v80, v59, v55
	v_dual_sub_f32 v54, v53, v57 :: v_dual_add_f32 v81, v47, v59
	v_sub_f32_e32 v63, v29, v27
	v_dual_sub_f32 v67, v25, v10 :: v_dual_sub_f32 v82, v55, v59
	v_dual_sub_f32 v71, v27, v29 :: v_dual_add_f32 v24, v30, v24
	v_sub_f32_e32 v10, v10, v29
	v_fma_f32 v30, -0.5, v31, v6
	v_add_f32_e32 v31, v34, v35
	v_fma_f32 v6, -0.5, v36, v6
	v_add_f32_e32 v35, v39, v49
	v_fma_f32 v36, -0.5, v44, v7
	v_dual_add_f32 v44, v62, v63 :: v_dual_add_f32 v25, v56, v25
	v_fma_f32 v39, -0.5, v58, v8
	v_dual_fmac_f32 v8, -0.5, v66 :: v_dual_sub_f32 v47, v51, v47
	v_add_f32_e32 v34, v37, v38
	v_dual_add_f32 v37, v48, v50 :: v_dual_add_f32 v50, v79, v80
	v_fma_f32 v7, -0.5, v52, v7
	v_add_f32_e32 v48, v72, v51
	v_fma_f32 v49, -0.5, v73, v11
	v_dual_fmac_f32 v11, -0.5, v81 :: v_dual_fmamk_f32 v56, v33, 0xbf737871, v6
	v_dual_fmac_f32 v6, 0x3f737871, v33 :: v_dual_add_f32 v25, v25, v27
	s_delay_alu instid0(VALU_DEP_4)
	v_dual_fmamk_f32 v63, v9, 0xbf737871, v36 :: v_dual_add_f32 v48, v48, v55
	v_dual_fmac_f32 v36, 0x3f737871, v9 :: v_dual_fmamk_f32 v27, v60, 0x3f737871, v39
	v_dual_add_f32 v38, v45, v54 :: v_dual_add_f32 v45, v67, v71
	v_add_f32_e32 v24, v24, v26
	v_dual_add_f32 v47, v47, v82 :: v_dual_fmamk_f32 v26, v32, 0x3f737871, v30
	v_dual_fmac_f32 v30, 0xbf737871, v32 :: v_dual_add_f32 v35, v35, v53
	v_fmamk_f32 v66, v46, 0x3f737871, v7
	v_fmac_f32_e32 v7, 0xbf737871, v46
	v_dual_fmac_f32 v39, 0xbf737871, v60 :: v_dual_fmamk_f32 v52, v61, 0xbf737871, v8
	v_fmac_f32_e32 v8, 0x3f737871, v61
	v_dual_fmamk_f32 v53, v10, 0xbf737871, v49 :: v_dual_add_f32 v24, v24, v28
	v_fmamk_f32 v54, v74, 0x3f737871, v11
	v_dual_fmac_f32 v11, 0xbf737871, v74 :: v_dual_add_f32 v28, v35, v57
	v_dual_fmac_f32 v56, 0x3f167918, v32 :: v_dual_fmac_f32 v7, 0x3f167918, v9
	v_dual_fmac_f32 v36, 0x3f167918, v46 :: v_dual_fmac_f32 v27, 0x3f167918, v61
	v_fmac_f32_e32 v49, 0x3f737871, v10
	v_dual_fmac_f32 v30, 0xbf167918, v33 :: v_dual_fmac_f32 v63, 0xbf167918, v46
	v_dual_fmac_f32 v66, 0xbf167918, v9 :: v_dual_fmac_f32 v53, 0xbf167918, v74
	v_dual_add_f32 v9, v25, v29 :: v_dual_fmac_f32 v52, 0x3f167918, v60
	v_fmac_f32_e32 v11, 0x3f167918, v10
	v_dual_add_f32 v25, v48, v59 :: v_dual_fmac_f32 v8, 0xbf167918, v60
	v_dual_fmac_f32 v56, 0x3e9e377a, v34 :: v_dual_fmac_f32 v27, 0x3e9e377a, v44
	v_dual_fmac_f32 v26, 0x3f167918, v33 :: v_dual_fmac_f32 v49, 0x3f167918, v74
	s_delay_alu instid0(VALU_DEP_3)
	v_dual_fmac_f32 v54, 0xbf167918, v10 :: v_dual_sub_f32 v51, v28, v25
	v_dual_fmac_f32 v30, 0x3e9e377a, v31 :: v_dual_fmac_f32 v7, 0x3e9e377a, v38
	v_dual_fmac_f32 v36, 0x3e9e377a, v37 :: v_dual_fmac_f32 v53, 0x3e9e377a, v50
	;; [unrolled: 1-line block ×4, first 2 shown]
	v_fmac_f32_e32 v8, 0x3e9e377a, v45
	v_dual_add_f32 v45, v28, v25 :: v_dual_mul_f32 v28, 0xbf167918, v27
	v_dual_fmac_f32 v6, 0xbf167918, v32 :: v_dual_fmac_f32 v39, 0xbf167918, v61
	v_dual_fmac_f32 v26, 0x3e9e377a, v31 :: v_dual_fmac_f32 v63, 0x3e9e377a, v37
	v_dual_sub_f32 v50, v24, v9 :: v_dual_mul_f32 v29, 0xbf737871, v52
	s_delay_alu instid0(VALU_DEP_4) | instskip(SKIP_3) | instid1(VALU_DEP_4)
	v_fmac_f32_e32 v28, 0x3f4f1bbd, v53
	v_fmac_f32_e32 v54, 0x3e9e377a, v47
	v_dual_fmac_f32 v6, 0x3e9e377a, v34 :: v_dual_fmac_f32 v39, 0x3e9e377a, v44
	v_dual_add_f32 v44, v24, v9 :: v_dual_mul_f32 v31, 0x3e9e377a, v11
	v_add_f32_e32 v47, v63, v28
	s_delay_alu instid0(VALU_DEP_4) | instskip(SKIP_3) | instid1(VALU_DEP_4)
	v_dual_mul_f32 v24, 0x3e9e377a, v8 :: v_dual_fmac_f32 v29, 0x3e9e377a, v54
	v_mul_f32_e32 v10, 0x3f737871, v54
	v_mul_f32_e32 v25, 0x3f4f1bbd, v39
	v_fma_f32 v8, 0xbf737871, v8, -v31
	v_fma_f32 v11, 0x3f737871, v11, -v24
	s_delay_alu instid0(VALU_DEP_4) | instskip(SKIP_3) | instid1(VALU_DEP_4)
	v_fmac_f32_e32 v10, 0x3e9e377a, v52
	v_mul_f32_e32 v9, 0x3f167918, v53
	v_fma_f32 v24, 0x3f167918, v49, -v25
	v_add_f32_e32 v53, v66, v29
	v_dual_add_f32 v55, v7, v8 :: v_dual_add_f32 v52, v56, v10
	s_delay_alu instid0(VALU_DEP_4) | instskip(NEXT) | instid1(VALU_DEP_4)
	v_dual_mul_f32 v32, 0x3f4f1bbd, v49 :: v_dual_fmac_f32 v9, 0x3f4f1bbd, v27
	v_add_f32_e32 v48, v30, v24
	v_sub_f32_e32 v58, v30, v24
	v_sub_f32_e32 v57, v7, v8
	s_delay_alu instid0(VALU_DEP_4) | instskip(SKIP_3) | instid1(VALU_DEP_4)
	v_fma_f32 v25, 0xbf167918, v39, -v32
	v_dual_add_f32 v46, v26, v9 :: v_dual_sub_f32 v61, v63, v28
	v_add_f32_e32 v54, v6, v11
	v_sub_f32_e32 v60, v26, v9
	v_sub_f32_e32 v59, v36, v25
	v_add_f32_e32 v49, v36, v25
	v_dual_sub_f32 v62, v56, v10 :: v_dual_sub_f32 v63, v66, v29
	v_sub_f32_e32 v56, v6, v11
	ds_store_2addr_b64 v78, v[44:45], v[46:47] offset1:13
	ds_store_2addr_b64 v78, v[52:53], v[54:55] offset0:26 offset1:39
	ds_store_2addr_b64 v78, v[48:49], v[50:51] offset0:52 offset1:65
	;; [unrolled: 1-line block ×4, first 2 shown]
	s_waitcnt lgkmcnt(0)
	s_barrier
	buffer_gl0_inv
	s_and_saveexec_b32 s2, vcc_lo
	s_cbranch_execz .LBB0_9
; %bb.8:
	v_add_nc_u32_e32 v6, 0x1000, v75
	v_add_nc_u32_e32 v7, 0x1800, v75
	;; [unrolled: 1-line block ×3, first 2 shown]
	ds_load_2addr_b64 v[44:47], v75 offset1:130
	ds_load_2addr_b64 v[52:55], v4 offset0:4 offset1:134
	ds_load_2addr_b64 v[48:51], v6 offset0:8 offset1:138
	;; [unrolled: 1-line block ×5, first 2 shown]
	ds_load_b64 v[64:65], v75 offset:12480
.LBB0_9:
	s_or_b32 exec_lo, exec_lo, s2
	v_add_nc_u32_e32 v4, 0xffffff7e, v76
	s_delay_alu instid0(VALU_DEP_1) | instskip(NEXT) | instid1(VALU_DEP_1)
	v_cndmask_b32_e32 v4, v4, v76, vcc_lo
	v_mul_i32_i24_e32 v5, 0x60, v4
	v_mul_hi_i32_i24_e32 v4, 0x60, v4
	s_delay_alu instid0(VALU_DEP_2) | instskip(NEXT) | instid1(VALU_DEP_1)
	v_add_co_u32 v36, s0, s0, v5
	v_add_co_ci_u32_e64 v37, s0, s1, v4, s0
	s_clause 0x5
	global_load_b128 v[32:35], v[36:37], off offset:936
	global_load_b128 v[24:27], v[36:37], off offset:952
	;; [unrolled: 1-line block ×6, first 2 shown]
	s_waitcnt vmcnt(5) lgkmcnt(5)
	v_dual_mul_f32 v84, v47, v33 :: v_dual_mul_f32 v83, v52, v35
	v_dual_mul_f32 v85, v46, v33 :: v_dual_mul_f32 v86, v53, v35
	s_waitcnt vmcnt(1) lgkmcnt(1)
	v_dual_mul_f32 v89, v51, v9 :: v_dual_mul_f32 v94, v41, v31
	s_waitcnt vmcnt(0) lgkmcnt(0)
	v_dual_mul_f32 v95, v43, v37 :: v_dual_mul_f32 v96, v65, v39
	v_dual_fmac_f32 v85, v47, v32 :: v_dual_mul_f32 v74, v64, v39
	v_fmac_f32_e32 v83, v53, v34
	v_mul_f32_e32 v87, v55, v25
	v_dual_mul_f32 v82, v54, v25 :: v_dual_mul_f32 v81, v48, v27
	v_dual_mul_f32 v88, v49, v27 :: v_dual_mul_f32 v91, v63, v5
	;; [unrolled: 1-line block ×7, first 2 shown]
	v_fma_f32 v97, v46, v32, -v84
	v_fma_f32 v46, v40, v30, -v94
	;; [unrolled: 1-line block ×3, first 2 shown]
	s_delay_alu instid0(VALU_DEP_4)
	v_dual_fmac_f32 v74, v65, v38 :: v_dual_fmac_f32 v73, v43, v36
	v_fma_f32 v84, v52, v34, -v86
	v_fma_f32 v54, v54, v24, -v87
	v_dual_fmac_f32 v82, v55, v24 :: v_dual_fmac_f32 v81, v49, v26
	v_fma_f32 v53, v48, v26, -v88
	v_fma_f32 v52, v50, v8, -v89
	v_dual_fmac_f32 v80, v51, v8 :: v_dual_fmac_f32 v79, v57, v6
	v_fma_f32 v50, v60, v10, -v90
	v_dual_fmac_f32 v66, v61, v10 :: v_dual_fmac_f32 v67, v63, v4
	v_fma_f32 v49, v62, v4, -v91
	v_fma_f32 v48, v56, v6, -v92
	;; [unrolled: 1-line block ×3, first 2 shown]
	v_dual_fmac_f32 v71, v59, v28 :: v_dual_fmac_f32 v72, v41, v30
	v_fma_f32 v41, v42, v36, -v95
	v_dual_add_f32 v56, v44, v97 :: v_dual_add_f32 v43, v85, v74
	v_dual_add_f32 v57, v45, v85 :: v_dual_add_f32 v60, v54, v46
	v_dual_sub_f32 v58, v97, v40 :: v_dual_add_f32 v55, v83, v73
	s_delay_alu instid0(VALU_DEP_4)
	v_dual_sub_f32 v59, v85, v74 :: v_dual_sub_f32 v62, v84, v41
	v_dual_add_f32 v42, v97, v40 :: v_dual_add_f32 v51, v84, v41
	v_dual_sub_f32 v63, v83, v73 :: v_dual_sub_f32 v64, v54, v46
	v_dual_sub_f32 v65, v82, v72 :: v_dual_sub_f32 v88, v81, v71
	;; [unrolled: 1-line block ×3, first 2 shown]
	v_add_f32_e32 v91, v80, v79
	v_dual_add_f32 v93, v50, v49 :: v_dual_add_f32 v56, v56, v84
	v_sub_f32_e32 v95, v66, v67
	v_add_f32_e32 v57, v57, v83
	v_dual_mul_f32 v83, 0xbeedf032, v59 :: v_dual_mul_f32 v84, 0xbeedf032, v58
	s_delay_alu instid0(VALU_DEP_4)
	v_add_f32_e32 v54, v56, v54
	v_dual_mul_f32 v96, 0xbf52af12, v59 :: v_dual_mul_f32 v97, 0xbf52af12, v58
	v_dual_mul_f32 v98, 0xbf7e222b, v59 :: v_dual_mul_f32 v99, 0xbf7e222b, v58
	;; [unrolled: 1-line block ×5, first 2 shown]
	v_dual_mul_f32 v58, 0xbe750f2a, v58 :: v_dual_add_f32 v61, v82, v72
	v_add_f32_e32 v86, v81, v71
	v_dual_add_f32 v85, v53, v47 :: v_dual_add_f32 v90, v52, v48
	v_dual_sub_f32 v89, v80, v79 :: v_dual_sub_f32 v94, v50, v49
	v_dual_mul_f32 v104, 0xbf52af12, v63 :: v_dual_mul_f32 v105, 0xbf52af12, v62
	v_dual_mul_f32 v106, 0xbf6f5d39, v63 :: v_dual_mul_f32 v107, 0xbf6f5d39, v62
	;; [unrolled: 1-line block ×6, first 2 shown]
	v_mul_f32_e32 v62, 0x3eedf032, v62
	v_dual_mul_f32 v114, 0xbf7e222b, v65 :: v_dual_mul_f32 v115, 0xbf7e222b, v64
	v_dual_mul_f32 v117, 0xbe750f2a, v64 :: v_dual_mul_f32 v144, 0xbe750f2a, v95
	;; [unrolled: 1-line block ×12, first 2 shown]
	v_dual_mul_f32 v143, 0x3eedf032, v92 :: v_dual_add_f32 v56, v57, v82
	v_fma_f32 v57, 0x3f62ad3f, v42, -v83
	v_dual_fmamk_f32 v82, v43, 0x3f62ad3f, v84 :: v_dual_fmac_f32 v83, 0x3f62ad3f, v42
	v_fma_f32 v84, 0x3f62ad3f, v43, -v84
	v_fma_f32 v145, 0x3f116cb1, v42, -v96
	s_delay_alu instid0(VALU_DEP_4)
	v_dual_fmamk_f32 v146, v43, 0x3f116cb1, v97 :: v_dual_add_f32 v57, v44, v57
	v_dual_fmac_f32 v96, 0x3f116cb1, v42 :: v_dual_fmamk_f32 v183, v86, 0x3f116cb1, v87
	v_fma_f32 v97, 0x3f116cb1, v43, -v97
	v_fma_f32 v147, 0x3df6dbef, v42, -v98
	v_dual_fmamk_f32 v148, v43, 0x3df6dbef, v99 :: v_dual_add_f32 v83, v44, v83
	v_fmac_f32_e32 v98, 0x3df6dbef, v42
	v_fma_f32 v99, 0x3df6dbef, v43, -v99
	v_fma_f32 v149, 0xbeb58ec6, v42, -v100
	v_dual_fmamk_f32 v150, v43, 0xbeb58ec6, v101 :: v_dual_add_f32 v145, v44, v145
	v_dual_fmac_f32 v100, 0xbeb58ec6, v42 :: v_dual_add_f32 v97, v45, v97
	v_fma_f32 v101, 0xbeb58ec6, v43, -v101
	v_fma_f32 v151, 0xbf3f9e67, v42, -v102
	v_dual_fmamk_f32 v152, v43, 0xbf3f9e67, v103 :: v_dual_add_f32 v147, v44, v147
	v_fmac_f32_e32 v102, 0xbf3f9e67, v42
	v_fma_f32 v103, 0xbf3f9e67, v43, -v103
	v_fma_f32 v153, 0xbf788fa5, v42, -v59
	v_dual_fmamk_f32 v154, v43, 0xbf788fa5, v58 :: v_dual_fmac_f32 v59, 0xbf788fa5, v42
	v_fma_f32 v42, 0xbf788fa5, v43, -v58
	v_dual_fmamk_f32 v58, v55, 0x3f116cb1, v105 :: v_dual_add_f32 v99, v45, v99
	v_dual_fmamk_f32 v156, v55, 0xbeb58ec6, v107 :: v_dual_add_f32 v101, v45, v101
	;; [unrolled: 1-line block ×3, first 2 shown]
	v_fmamk_f32 v162, v55, 0x3df6dbef, v113
	v_fma_f32 v163, 0x3f62ad3f, v51, -v63
	v_dual_fmamk_f32 v164, v55, 0x3f62ad3f, v62 :: v_dual_fmac_f32 v63, 0x3f62ad3f, v51
	v_fma_f32 v179, 0x3df6dbef, v85, -v130
	v_fma_f32 v180, 0xbf788fa5, v85, -v132
	v_add_f32_e32 v82, v45, v82
	v_add_f32_e32 v84, v45, v84
	;; [unrolled: 1-line block ×6, first 2 shown]
	v_fmamk_f32 v178, v86, 0x3f62ad3f, v129
	v_add_f32_e32 v152, v45, v152
	v_dual_add_f32 v42, v45, v42 :: v_dual_add_f32 v45, v54, v53
	v_fmamk_f32 v176, v86, 0xbf3f9e67, v127
	v_dual_mul_f32 v134, 0xbf29c268, v89 :: v_dual_mul_f32 v139, 0xbf29c268, v92
	v_dual_mul_f32 v135, 0x3f7e222b, v89 :: v_dual_mul_f32 v140, 0x3f7e222b, v92
	s_delay_alu instid0(VALU_DEP_4)
	v_dual_add_f32 v45, v45, v52 :: v_dual_mul_f32 v136, 0xbf52af12, v89
	v_mul_f32_e32 v141, 0xbf52af12, v92
	v_dual_mul_f32 v137, 0x3e750f2a, v89 :: v_dual_mul_f32 v142, 0x3e750f2a, v92
	v_dual_mul_f32 v89, 0xbf6f5d39, v89 :: v_dual_mul_f32 v92, 0xbf6f5d39, v92
	v_fma_f32 v43, 0x3f116cb1, v51, -v104
	v_dual_fmac_f32 v104, 0x3f116cb1, v51 :: v_dual_add_f32 v149, v44, v149
	v_fma_f32 v105, 0x3f116cb1, v55, -v105
	v_fma_f32 v155, 0xbeb58ec6, v51, -v106
	v_fmac_f32_e32 v106, 0xbeb58ec6, v51
	v_fma_f32 v107, 0xbeb58ec6, v55, -v107
	v_fma_f32 v157, 0xbf788fa5, v51, -v108
	v_dual_fmamk_f32 v158, v55, 0xbf788fa5, v109 :: v_dual_add_f32 v151, v44, v151
	v_fmac_f32_e32 v108, 0xbf788fa5, v51
	v_fma_f32 v109, 0xbf788fa5, v55, -v109
	v_fma_f32 v159, 0xbf3f9e67, v51, -v110
	v_dual_fmac_f32 v110, 0xbf3f9e67, v51 :: v_dual_add_f32 v153, v44, v153
	v_fma_f32 v111, 0xbf3f9e67, v55, -v111
	v_fma_f32 v161, 0x3df6dbef, v51, -v112
	v_fmac_f32_e32 v112, 0x3df6dbef, v51
	v_fma_f32 v113, 0x3df6dbef, v55, -v113
	v_fma_f32 v51, 0x3f62ad3f, v55, -v62
	;; [unrolled: 1-line block ×3, first 2 shown]
	v_dual_fmac_f32 v114, 0x3df6dbef, v60 :: v_dual_add_f32 v53, v56, v81
	v_fma_f32 v177, 0x3f62ad3f, v85, -v128
	v_dual_fmac_f32 v128, 0x3f62ad3f, v85 :: v_dual_add_f32 v45, v45, v50
	v_dual_fmamk_f32 v62, v61, 0x3df6dbef, v115 :: v_dual_fmamk_f32 v189, v91, 0x3df6dbef, v140
	v_fma_f32 v115, 0x3df6dbef, v61, -v115
	v_fma_f32 v165, 0xbf788fa5, v60, -v116
	v_dual_fmamk_f32 v166, v61, 0xbf788fa5, v117 :: v_dual_fmamk_f32 v191, v91, 0xbf788fa5, v142
	v_dual_fmac_f32 v116, 0xbf788fa5, v60 :: v_dual_add_f32 v43, v43, v57
	v_fma_f32 v117, 0xbf788fa5, v61, -v117
	v_fma_f32 v167, 0xbeb58ec6, v60, -v118
	v_dual_fmamk_f32 v168, v61, 0xbeb58ec6, v119 :: v_dual_fmamk_f32 v193, v91, 0xbeb58ec6, v92
	v_fmac_f32_e32 v118, 0xbeb58ec6, v60
	v_fma_f32 v119, 0xbeb58ec6, v61, -v119
	v_fma_f32 v169, 0x3f62ad3f, v60, -v120
	v_fmac_f32_e32 v120, 0x3f62ad3f, v60
	v_fma_f32 v171, 0x3f116cb1, v60, -v122
	v_fmamk_f32 v172, v61, 0x3f116cb1, v123
	v_fmac_f32_e32 v122, 0x3f116cb1, v60
	v_fma_f32 v123, 0x3f116cb1, v61, -v123
	v_fma_f32 v173, 0xbf3f9e67, v60, -v65
	v_dual_fmamk_f32 v174, v61, 0xbf3f9e67, v64 :: v_dual_fmac_f32 v65, 0xbf3f9e67, v60
	v_fma_f32 v60, 0xbf3f9e67, v61, -v64
	v_fma_f32 v188, 0xbeb58ec6, v90, -v89
	v_dual_fmac_f32 v89, 0xbeb58ec6, v90 :: v_dual_add_f32 v96, v44, v96
	v_add_f32_e32 v45, v45, v49
	v_fmamk_f32 v170, v61, 0x3f62ad3f, v121
	v_fma_f32 v121, 0x3f62ad3f, v61, -v121
	v_fma_f32 v61, 0xbeb58ec6, v85, -v124
	v_dual_add_f32 v81, v106, v96 :: v_dual_fmac_f32 v124, 0xbeb58ec6, v85
	v_dual_add_f32 v53, v53, v80 :: v_dual_fmamk_f32 v64, v86, 0xbeb58ec6, v125
	v_dual_add_f32 v57, v105, v84 :: v_dual_fmac_f32 v130, 0x3df6dbef, v85
	s_delay_alu instid0(VALU_DEP_2)
	v_dual_add_f32 v43, v55, v43 :: v_dual_add_f32 v50, v53, v66
	v_fma_f32 v185, 0x3f116cb1, v90, -v136
	v_add_f32_e32 v56, v104, v83
	v_add_f32_e32 v80, v159, v149
	v_fma_f32 v125, 0xbeb58ec6, v86, -v125
	v_add_f32_e32 v49, v50, v67
	v_dual_add_f32 v54, v58, v82 :: v_dual_add_f32 v45, v45, v48
	v_fma_f32 v175, 0xbf3f9e67, v85, -v126
	v_dual_fmac_f32 v126, 0xbf3f9e67, v85 :: v_dual_add_f32 v103, v113, v103
	v_fmac_f32_e32 v132, 0xbf788fa5, v85
	v_fma_f32 v181, 0x3f116cb1, v85, -v88
	v_dual_fmac_f32 v88, 0x3f116cb1, v85 :: v_dual_add_f32 v53, v114, v56
	v_fmamk_f32 v85, v86, 0x3df6dbef, v131
	v_fma_f32 v184, 0x3df6dbef, v90, -v135
	v_fmac_f32_e32 v135, 0x3df6dbef, v90
	v_fma_f32 v142, 0xbf788fa5, v91, -v142
	v_dual_add_f32 v100, v44, v100 :: v_dual_add_f32 v43, v61, v43
	v_dual_add_f32 v102, v44, v102 :: v_dual_add_f32 v83, v157, v147
	;; [unrolled: 1-line block ×3, first 2 shown]
	v_add_f32_e32 v42, v51, v42
	v_dual_add_f32 v51, v62, v54 :: v_dual_add_f32 v54, v115, v57
	v_add_f32_e32 v66, v66, v67
	v_add_f32_e32 v80, v169, v80
	;; [unrolled: 1-line block ×7, first 2 shown]
	v_fma_f32 v127, 0xbf3f9e67, v86, -v127
	v_fma_f32 v129, 0x3f62ad3f, v86, -v129
	;; [unrolled: 1-line block ×3, first 2 shown]
	v_fmac_f32_e32 v136, 0x3f116cb1, v90
	v_fma_f32 v186, 0xbf788fa5, v90, -v137
	v_fmac_f32_e32 v137, 0xbf788fa5, v90
	v_fma_f32 v187, 0x3f62ad3f, v90, -v138
	v_fmamk_f32 v190, v91, 0x3f116cb1, v141
	v_add_f32_e32 v82, v107, v97
	v_add_f32_e32 v56, v166, v59
	;; [unrolled: 1-line block ×4, first 2 shown]
	v_dual_add_f32 v99, v173, v104 :: v_dual_add_f32 v50, v64, v51
	v_add_f32_e32 v58, v155, v145
	v_fmamk_f32 v182, v86, 0xbf788fa5, v133
	v_fma_f32 v133, 0xbf788fa5, v86, -v133
	v_fma_f32 v86, 0x3f116cb1, v86, -v87
	v_fma_f32 v87, 0xbf3f9e67, v90, -v134
	v_dual_fmac_f32 v134, 0xbf3f9e67, v90 :: v_dual_add_f32 v57, v116, v81
	v_add_f32_e32 v51, v124, v53
	v_add_f32_e32 v53, v125, v54
	;; [unrolled: 1-line block ×3, first 2 shown]
	v_dual_fmac_f32 v138, 0x3f62ad3f, v90 :: v_dual_add_f32 v61, v179, v80
	v_dual_add_f32 v97, v160, v150 :: v_dual_fmamk_f32 v90, v91, 0xbf3f9e67, v139
	v_fma_f32 v139, 0xbf3f9e67, v91, -v139
	v_dual_add_f32 v98, v110, v100 :: v_dual_add_f32 v45, v45, v47
	s_delay_alu instid0(VALU_DEP_3) | instskip(NEXT) | instid1(VALU_DEP_4)
	v_add_f32_e32 v81, v170, v97
	v_add_f32_e32 v49, v90, v50
	;; [unrolled: 1-line block ×4, first 2 shown]
	v_dual_add_f32 v50, v134, v51 :: v_dual_add_f32 v51, v139, v53
	s_delay_alu instid0(VALU_DEP_3) | instskip(NEXT) | instid1(VALU_DEP_3)
	v_dual_add_f32 v45, v45, v46 :: v_dual_add_f32 v54, v175, v55
	v_add_f32_e32 v46, v47, v72
	v_fma_f32 v140, 0x3df6dbef, v91, -v140
	v_add_f32_e32 v44, v63, v44
	v_add_f32_e32 v63, v118, v96
	;; [unrolled: 1-line block ×4, first 2 shown]
	v_dual_add_f32 v64, v131, v83 :: v_dual_add_f32 v41, v45, v41
	v_dual_add_f32 v55, v176, v56 :: v_dual_add_f32 v56, v126, v57
	v_add_f32_e32 v45, v46, v73
	s_delay_alu instid0(VALU_DEP_4) | instskip(SKIP_1) | instid1(VALU_DEP_4)
	v_dual_add_f32 v57, v127, v58 :: v_dual_add_f32 v84, v158, v148
	v_dual_add_f32 v43, v87, v43 :: v_dual_add_f32 v82, v120, v98
	;; [unrolled: 1-line block ×3, first 2 shown]
	s_delay_alu instid0(VALU_DEP_3)
	v_dual_add_f32 v56, v140, v57 :: v_dual_add_f32 v47, v142, v64
	v_add_f32_e32 v42, v60, v42
	v_add_f32_e32 v60, v128, v63
	;; [unrolled: 1-line block ×3, first 2 shown]
	v_fma_f32 v48, 0xbf788fa5, v93, -v144
	v_fmac_f32_e32 v144, 0xbf788fa5, v93
	v_add_f32_e32 v98, v123, v103
	v_dual_add_f32 v52, v119, v52 :: v_dual_add_f32 v63, v130, v82
	v_dual_add_f32 v83, v181, v99 :: v_dual_add_f32 v102, v112, v102
	v_dual_add_f32 v61, v186, v61 :: v_dual_fmamk_f32 v192, v91, 0x3f62ad3f, v143
	v_fma_f32 v143, 0x3f62ad3f, v91, -v143
	v_add_f32_e32 v42, v86, v42
	v_add_f32_e32 v40, v41, v40
	;; [unrolled: 1-line block ×3, first 2 shown]
	v_fma_f32 v45, 0xbeb58ec6, v91, -v92
	v_add_f32_e32 v73, v144, v50
	v_add_f32_e32 v82, v133, v98
	;; [unrolled: 1-line block ×3, first 2 shown]
	s_delay_alu instid0(VALU_DEP_4)
	v_dual_add_f32 v84, v171, v100 :: v_dual_add_f32 v45, v45, v42
	v_fma_f32 v141, 0x3f116cb1, v91, -v141
	v_add_f32_e32 v58, v177, v59
	v_add_f32_e32 v52, v129, v52
	;; [unrolled: 1-line block ×9, first 2 shown]
	v_dual_add_f32 v57, v185, v58 :: v_dual_add_f32 v42, v48, v43
	v_mul_f32_e32 v48, 0x3eedf032, v95
	s_delay_alu instid0(VALU_DEP_4)
	v_dual_add_f32 v58, v190, v59 :: v_dual_add_f32 v59, v136, v60
	v_add_f32_e32 v60, v141, v52
	v_mul_f32_e32 v52, 0xbe750f2a, v94
	v_dual_add_f32 v96, v172, v101 :: v_dual_mul_f32 v79, 0x3eedf032, v94
	v_add_f32_e32 v97, v122, v102
	v_add_f32_e32 v100, v174, v105
	s_delay_alu instid0(VALU_DEP_4) | instskip(NEXT) | instid1(VALU_DEP_4)
	v_fmamk_f32 v43, v66, 0xbf788fa5, v52
	v_add_f32_e32 v80, v182, v96
	v_fma_f32 v52, 0xbf788fa5, v66, -v52
	v_add_f32_e32 v64, v187, v65
	s_delay_alu instid0(VALU_DEP_4)
	v_dual_fmamk_f32 v50, v66, 0x3f62ad3f, v79 :: v_dual_add_f32 v43, v43, v49
	v_fma_f32 v49, 0x3f62ad3f, v93, -v48
	v_add_f32_e32 v65, v192, v80
	v_add_f32_e32 v74, v52, v51
	v_mul_f32_e32 v80, 0xbf29c268, v95
	v_fmac_f32_e32 v48, 0x3f62ad3f, v93
	v_add_f32_e32 v52, v49, v53
	v_fma_f32 v49, 0x3f62ad3f, v66, -v79
	v_mul_f32_e32 v79, 0xbf29c268, v94
	v_add_f32_e32 v53, v50, v54
	v_fma_f32 v54, 0xbf3f9e67, v93, -v80
	s_delay_alu instid0(VALU_DEP_4)
	v_dual_add_f32 v50, v48, v55 :: v_dual_add_f32 v51, v49, v56
	v_mul_f32_e32 v56, 0x3f52af12, v95
	v_fmamk_f32 v48, v66, 0xbf3f9e67, v79
	v_fmac_f32_e32 v80, 0xbf3f9e67, v93
	v_fma_f32 v49, 0xbf3f9e67, v66, -v79
	v_dual_mul_f32 v79, 0x3f52af12, v94 :: v_dual_add_f32 v54, v54, v57
	v_fma_f32 v57, 0x3f116cb1, v93, -v56
	v_add_f32_e32 v55, v48, v58
	v_add_f32_e32 v48, v80, v59
	s_delay_alu instid0(VALU_DEP_4) | instskip(SKIP_3) | instid1(VALU_DEP_4)
	v_fma_f32 v59, 0x3f116cb1, v66, -v79
	v_add_f32_e32 v62, v85, v81
	v_add_f32_e32 v49, v49, v60
	v_dual_add_f32 v60, v57, v61 :: v_dual_fmamk_f32 v57, v66, 0x3f116cb1, v79
	v_add_f32_e32 v59, v59, v47
	s_delay_alu instid0(VALU_DEP_4) | instskip(SKIP_2) | instid1(VALU_DEP_3)
	v_add_f32_e32 v62, v191, v62
	v_dual_mul_f32 v80, 0xbf6f5d39, v95 :: v_dual_add_f32 v81, v132, v97
	v_dual_mul_f32 v79, 0xbf6f5d39, v94 :: v_dual_add_f32 v84, v183, v100
	v_add_f32_e32 v61, v57, v62
	s_delay_alu instid0(VALU_DEP_3) | instskip(NEXT) | instid1(VALU_DEP_4)
	v_fma_f32 v57, 0xbeb58ec6, v93, -v80
	v_add_f32_e32 v46, v138, v81
	v_fmac_f32_e32 v56, 0x3f116cb1, v93
	v_dual_fmamk_f32 v47, v66, 0xbeb58ec6, v79 :: v_dual_add_f32 v44, v88, v44
	v_fmac_f32_e32 v80, 0xbeb58ec6, v93
	v_dual_add_f32 v62, v57, v64 :: v_dual_mul_f32 v81, 0x3f7e222b, v95
	v_dual_mul_f32 v57, 0x3f7e222b, v94 :: v_dual_add_f32 v72, v188, v83
	v_dual_add_f32 v67, v193, v84 :: v_dual_add_f32 v58, v56, v63
	v_dual_add_f32 v63, v47, v65 :: v_dual_add_f32 v44, v89, v44
	v_add_f32_e32 v56, v80, v46
	v_fma_f32 v46, 0xbeb58ec6, v66, -v79
	v_fma_f32 v47, 0x3df6dbef, v93, -v81
	v_fmamk_f32 v65, v66, 0x3df6dbef, v57
	v_fmac_f32_e32 v81, 0x3df6dbef, v93
	v_fma_f32 v79, 0x3df6dbef, v66, -v57
	s_delay_alu instid0(VALU_DEP_4) | instskip(NEXT) | instid1(VALU_DEP_4)
	v_dual_add_f32 v57, v46, v71 :: v_dual_add_f32 v64, v47, v72
	v_add_f32_e32 v65, v65, v67
	s_delay_alu instid0(VALU_DEP_3)
	v_dual_add_f32 v66, v81, v44 :: v_dual_add_f32 v67, v79, v45
	s_and_saveexec_b32 s0, vcc_lo
	s_cbranch_execz .LBB0_11
; %bb.10:
	v_add_nc_u32_e32 v44, 0x800, v75
	v_add_nc_u32_e32 v45, 0x1000, v75
	v_add_nc_u32_e32 v46, 0x1800, v75
	v_add_nc_u32_e32 v47, 0x2000, v75
	v_add_nc_u32_e32 v71, 0x2800, v75
	ds_store_2addr_b64 v75, v[40:41], v[42:43] offset1:130
	ds_store_2addr_b64 v44, v[52:53], v[54:55] offset0:4 offset1:134
	ds_store_2addr_b64 v45, v[60:61], v[62:63] offset0:8 offset1:138
	;; [unrolled: 1-line block ×5, first 2 shown]
	ds_store_b64 v75, v[73:74] offset:12480
.LBB0_11:
	s_or_b32 exec_lo, exec_lo, s0
	s_waitcnt lgkmcnt(0)
	s_barrier
	buffer_gl0_inv
	s_and_saveexec_b32 s1, vcc_lo
	s_cbranch_execz .LBB0_13
; %bb.12:
	v_add_co_u32 v79, s0, s14, v75
	s_delay_alu instid0(VALU_DEP_1) | instskip(SKIP_1) | instid1(VALU_DEP_3)
	v_add_co_ci_u32_e64 v80, null, s15, 0, s0
	v_add_nc_u32_e32 v122, 0x400, v75
	v_add_co_u32 v44, s0, 0x3000, v79
	s_delay_alu instid0(VALU_DEP_1) | instskip(SKIP_1) | instid1(VALU_DEP_1)
	v_add_co_ci_u32_e64 v45, s0, 0, v80, s0
	v_add_co_u32 v46, s0, 0x34d0, v79
	v_add_co_ci_u32_e64 v47, s0, 0, v80, s0
	s_clause 0x3
	global_load_b64 v[44:45], v[44:45], off offset:1232
	global_load_b64 v[99:100], v[46:47], off offset:1040
	;; [unrolled: 1-line block ×4, first 2 shown]
	v_add_co_u32 v71, s0, 0x4000, v79
	s_delay_alu instid0(VALU_DEP_1) | instskip(SKIP_1) | instid1(VALU_DEP_1)
	v_add_co_ci_u32_e64 v72, s0, 0, v80, s0
	v_add_co_u32 v46, s0, 0x5000, v79
	v_add_co_ci_u32_e64 v47, s0, 0, v80, s0
	v_add_co_u32 v79, s0, 0x6000, v79
	s_delay_alu instid0(VALU_DEP_1)
	v_add_co_ci_u32_e64 v80, s0, 0, v80, s0
	s_clause 0x8
	global_load_b64 v[105:106], v[71:72], off offset:1296
	global_load_b64 v[107:108], v[71:72], off offset:2336
	;; [unrolled: 1-line block ×9, first 2 shown]
	ds_load_b64 v[46:47], v75
	v_add_nc_u32_e32 v123, 0xc00, v75
	v_add_nc_u32_e32 v125, 0x1c00, v75
	s_waitcnt vmcnt(12) lgkmcnt(0)
	v_mul_f32_e32 v79, v47, v45
	v_mul_f32_e32 v80, v46, v45
	s_delay_alu instid0(VALU_DEP_2) | instskip(NEXT) | instid1(VALU_DEP_2)
	v_fma_f32 v79, v46, v44, -v79
	v_fmac_f32_e32 v80, v47, v44
	ds_store_b64 v75, v[79:80]
	ds_load_2addr_b64 v[44:47], v122 offset0:2 offset1:132
	v_add_nc_u32_e32 v124, 0x1400, v75
	v_add_nc_u32_e32 v126, 0x2400, v75
	ds_load_2addr_b64 v[79:82], v123 offset0:6 offset1:136
	v_add_nc_u32_e32 v127, 0x2c00, v75
	ds_load_2addr_b64 v[87:90], v125 offset0:14 offset1:144
	s_waitcnt vmcnt(11) lgkmcnt(2)
	v_mul_f32_e32 v128, v45, v100
	v_mul_f32_e32 v121, v44, v100
	ds_load_2addr_b64 v[83:86], v124 offset0:10 offset1:140
	s_waitcnt vmcnt(10)
	v_mul_f32_e32 v129, v47, v102
	ds_load_2addr_b64 v[91:94], v126 offset0:18 offset1:148
	ds_load_2addr_b64 v[95:98], v127 offset0:22 offset1:152
	v_dual_mul_f32 v100, v46, v102 :: v_dual_fmac_f32 v121, v45, v99
	s_waitcnt vmcnt(8) lgkmcnt(4)
	v_dual_mul_f32 v130, v80, v104 :: v_dual_mul_f32 v131, v82, v106
	v_mul_f32_e32 v102, v79, v104
	v_mul_f32_e32 v104, v81, v106
	s_waitcnt vmcnt(4) lgkmcnt(3)
	v_dual_mul_f32 v134, v88, v110 :: v_dual_mul_f32 v135, v90, v112
	v_fmac_f32_e32 v100, v47, v101
	v_fmac_f32_e32 v102, v80, v103
	s_waitcnt lgkmcnt(2)
	v_mul_f32_e32 v132, v84, v108
	v_mul_f32_e32 v106, v83, v108
	;; [unrolled: 1-line block ×4, first 2 shown]
	s_waitcnt vmcnt(2) lgkmcnt(1)
	v_dual_mul_f32 v72, v87, v110 :: v_dual_mul_f32 v137, v94, v116
	v_mul_f32_e32 v110, v89, v112
	s_waitcnt vmcnt(0) lgkmcnt(0)
	v_dual_mul_f32 v136, v92, v114 :: v_dual_mul_f32 v139, v98, v120
	v_mul_f32_e32 v112, v91, v114
	v_mul_f32_e32 v114, v93, v116
	;; [unrolled: 1-line block ×5, first 2 shown]
	v_fma_f32 v120, v44, v99, -v128
	v_fma_f32 v99, v46, v101, -v129
	;; [unrolled: 1-line block ×4, first 2 shown]
	v_fmac_f32_e32 v104, v82, v105
	v_fma_f32 v105, v83, v107, -v132
	v_fmac_f32_e32 v106, v84, v107
	v_fma_f32 v107, v85, v71, -v133
	;; [unrolled: 2-line block ×8, first 2 shown]
	v_fmac_f32_e32 v118, v98, v119
	ds_store_2addr_b64 v122, v[120:121], v[99:100] offset0:2 offset1:132
	ds_store_2addr_b64 v123, v[101:102], v[103:104] offset0:6 offset1:136
	;; [unrolled: 1-line block ×6, first 2 shown]
.LBB0_13:
	s_or_b32 exec_lo, exec_lo, s1
	s_waitcnt lgkmcnt(0)
	s_barrier
	buffer_gl0_inv
	s_and_saveexec_b32 s0, vcc_lo
	s_cbranch_execz .LBB0_15
; %bb.14:
	v_add_nc_u32_e32 v44, 0x800, v75
	v_add_nc_u32_e32 v45, 0x1000, v75
	;; [unrolled: 1-line block ×5, first 2 shown]
	ds_load_2addr_b64 v[40:43], v75 offset1:130
	ds_load_2addr_b64 v[52:55], v44 offset0:4 offset1:134
	ds_load_2addr_b64 v[60:63], v45 offset0:8 offset1:138
	ds_load_2addr_b64 v[64:67], v46 offset0:12 offset1:142
	ds_load_2addr_b64 v[56:59], v47 offset0:16 offset1:146
	ds_load_2addr_b64 v[48:51], v48 offset0:20 offset1:150
	ds_load_b64 v[73:74], v75 offset:12480
.LBB0_15:
	s_or_b32 exec_lo, exec_lo, s0
	s_waitcnt lgkmcnt(0)
	v_dual_sub_f32 v111, v43, v74 :: v_dual_sub_f32 v80, v42, v73
	v_add_f32_e32 v79, v73, v42
	v_add_f32_e32 v81, v50, v52
	v_sub_f32_e32 v137, v65, v67
	s_delay_alu instid0(VALU_DEP_4) | instskip(SKIP_2) | instid1(VALU_DEP_3)
	v_mul_f32_e32 v89, 0xbeedf032, v111
	v_dual_mul_f32 v97, 0xbf52af12, v111 :: v_dual_sub_f32 v82, v52, v50
	v_sub_f32_e32 v117, v53, v51
	v_fma_f32 v44, 0x3f62ad3f, v79, -v89
	v_add_f32_e32 v119, v74, v43
	s_barrier
	s_delay_alu instid0(VALU_DEP_3) | instskip(NEXT) | instid1(VALU_DEP_3)
	v_mul_f32_e32 v101, 0xbf6f5d39, v117
	v_dual_mul_f32 v93, 0xbf52af12, v117 :: v_dual_add_f32 v44, v40, v44
	s_delay_alu instid0(VALU_DEP_3) | instskip(SKIP_1) | instid1(VALU_DEP_4)
	v_mul_f32_e32 v100, 0x3f116cb1, v119
	v_fma_f32 v46, 0x3f116cb1, v79, -v97
	v_fma_f32 v85, 0xbeb58ec6, v81, -v101
	buffer_gl0_inv
	v_dual_sub_f32 v122, v55, v49 :: v_dual_fmamk_f32 v47, v80, 0xbf52af12, v100
	v_dual_add_f32 v46, v40, v46 :: v_dual_mul_f32 v109, 0x3df6dbef, v119
	s_delay_alu instid0(VALU_DEP_2) | instskip(SKIP_1) | instid1(VALU_DEP_3)
	v_dual_sub_f32 v132, v63, v57 :: v_dual_mul_f32 v95, 0xbf7e222b, v122
	v_mul_f32_e32 v115, 0x3f6f5d39, v122
	v_dual_add_f32 v46, v85, v46 :: v_dual_mul_f32 v103, 0xbf7e222b, v111
	s_delay_alu instid0(VALU_DEP_4)
	v_fmamk_f32 v72, v80, 0xbf7e222b, v109
	v_mul_f32_e32 v91, 0x3f62ad3f, v119
	v_sub_f32_e32 v126, v61, v59
	v_add_f32_e32 v136, v57, v63
	v_fma_f32 v71, 0x3df6dbef, v79, -v103
	v_dual_add_f32 v72, v41, v72 :: v_dual_add_f32 v123, v51, v53
	s_delay_alu instid0(VALU_DEP_4) | instskip(NEXT) | instid1(VALU_DEP_3)
	v_mul_f32_e32 v114, 0x3f29c268, v126
	v_dual_mul_f32 v98, 0xbf6f5d39, v126 :: v_dual_add_f32 v71, v40, v71
	v_mul_f32_e32 v124, 0x3df6dbef, v136
	s_delay_alu instid0(VALU_DEP_4) | instskip(SKIP_4) | instid1(VALU_DEP_4)
	v_mul_f32_e32 v118, 0xbf788fa5, v123
	v_fma_f32 v83, 0x3f116cb1, v81, -v93
	v_fmamk_f32 v45, v80, 0xbeedf032, v91
	v_mul_f32_e32 v104, 0xbf3f9e67, v136
	v_mul_f32_e32 v134, 0x3f116cb1, v136
	v_dual_fmamk_f32 v85, v82, 0xbe750f2a, v118 :: v_dual_add_f32 v44, v83, v44
	s_delay_alu instid0(VALU_DEP_1) | instskip(SKIP_2) | instid1(VALU_DEP_2)
	v_add_f32_e32 v72, v85, v72
	v_dual_add_f32 v45, v41, v45 :: v_dual_mul_f32 v94, 0x3f116cb1, v123
	v_mul_f32_e32 v105, 0xbeb58ec6, v123
	v_dual_fmamk_f32 v84, v82, 0xbf52af12, v94 :: v_dual_add_f32 v47, v41, v47
	v_mul_f32_e32 v108, 0xbe750f2a, v117
	s_delay_alu instid0(VALU_DEP_2) | instskip(NEXT) | instid1(VALU_DEP_2)
	v_dual_add_f32 v45, v84, v45 :: v_dual_sub_f32 v84, v54, v48
	v_fma_f32 v86, 0xbf788fa5, v81, -v108
	v_add_f32_e32 v129, v49, v55
	s_delay_alu instid0(VALU_DEP_1) | instskip(NEXT) | instid1(VALU_DEP_1)
	v_dual_add_f32 v71, v86, v71 :: v_dual_mul_f32 v96, 0x3df6dbef, v129
	v_fmamk_f32 v86, v84, 0xbf7e222b, v96
	v_mul_f32_e32 v110, 0xbf788fa5, v129
	v_mul_f32_e32 v107, 0xbe750f2a, v122
	s_delay_alu instid0(VALU_DEP_3) | instskip(SKIP_1) | instid1(VALU_DEP_4)
	v_dual_add_f32 v45, v86, v45 :: v_dual_sub_f32 v86, v60, v58
	v_fmamk_f32 v83, v82, 0xbf6f5d39, v105
	v_dual_add_f32 v133, v59, v61 :: v_dual_fmamk_f32 v88, v84, 0xbe750f2a, v110
	s_delay_alu instid0(VALU_DEP_2) | instskip(NEXT) | instid1(VALU_DEP_2)
	v_add_f32_e32 v47, v83, v47
	v_dual_add_f32 v83, v48, v54 :: v_dual_mul_f32 v116, 0xbf3f9e67, v133
	s_delay_alu instid0(VALU_DEP_1) | instskip(SKIP_1) | instid1(VALU_DEP_3)
	v_fma_f32 v85, 0x3df6dbef, v83, -v95
	v_fma_f32 v87, 0xbf788fa5, v83, -v107
	v_fmamk_f32 v102, v86, 0x3f29c268, v116
	s_delay_alu instid0(VALU_DEP_3) | instskip(SKIP_1) | instid1(VALU_DEP_1)
	v_add_f32_e32 v44, v85, v44
	v_fma_f32 v85, 0xbeb58ec6, v83, -v115
	v_dual_add_f32 v46, v87, v46 :: v_dual_add_f32 v71, v85, v71
	v_add_f32_e32 v85, v58, v60
	s_delay_alu instid0(VALU_DEP_1) | instskip(NEXT) | instid1(VALU_DEP_1)
	v_fma_f32 v92, 0xbf3f9e67, v85, -v114
	v_dual_mul_f32 v125, 0xbeb58ec6, v129 :: v_dual_add_f32 v46, v92, v46
	s_delay_alu instid0(VALU_DEP_1) | instskip(SKIP_1) | instid1(VALU_DEP_2)
	v_fmamk_f32 v87, v84, 0x3f6f5d39, v125
	v_mul_f32_e32 v131, 0x3f62ad3f, v133
	v_dual_mul_f32 v121, 0x3eedf032, v126 :: v_dual_add_f32 v72, v87, v72
	s_delay_alu instid0(VALU_DEP_2) | instskip(SKIP_2) | instid1(VALU_DEP_3)
	v_fmamk_f32 v92, v86, 0x3eedf032, v131
	v_mul_f32_e32 v99, 0xbeb58ec6, v133
	v_add_f32_e32 v87, v56, v62
	v_add_f32_e32 v72, v92, v72
	s_delay_alu instid0(VALU_DEP_3) | instskip(SKIP_1) | instid1(VALU_DEP_2)
	v_dual_add_f32 v47, v88, v47 :: v_dual_fmamk_f32 v90, v86, 0xbf6f5d39, v99
	v_fma_f32 v88, 0xbeb58ec6, v85, -v98
	v_add_f32_e32 v47, v102, v47
	s_delay_alu instid0(VALU_DEP_3) | instskip(NEXT) | instid1(VALU_DEP_3)
	v_dual_add_f32 v45, v90, v45 :: v_dual_mul_f32 v102, 0xbf29c268, v132
	v_add_f32_e32 v44, v88, v44
	v_sub_f32_e32 v88, v62, v56
	v_fma_f32 v90, 0x3f62ad3f, v85, -v121
	v_mul_f32_e32 v113, 0x3f7e222b, v132
	v_fma_f32 v106, 0xbf3f9e67, v87, -v102
	s_delay_alu instid0(VALU_DEP_4) | instskip(NEXT) | instid1(VALU_DEP_4)
	v_dual_mul_f32 v127, 0xbf52af12, v132 :: v_dual_fmamk_f32 v120, v88, 0xbf52af12, v134
	v_dual_fmamk_f32 v112, v88, 0xbf29c268, v104 :: v_dual_add_f32 v71, v90, v71
	v_fmamk_f32 v92, v88, 0x3f7e222b, v124
	v_fma_f32 v90, 0x3df6dbef, v87, -v113
	s_delay_alu instid0(VALU_DEP_3) | instskip(SKIP_1) | instid1(VALU_DEP_3)
	v_dual_add_f32 v44, v106, v44 :: v_dual_add_f32 v45, v112, v45
	v_fma_f32 v112, 0x3f116cb1, v87, -v127
	v_dual_add_f32 v47, v92, v47 :: v_dual_add_f32 v46, v90, v46
	v_add_f32_e32 v90, v66, v64
	v_mul_f32_e32 v106, 0xbe750f2a, v137
	s_delay_alu instid0(VALU_DEP_4) | instskip(SKIP_2) | instid1(VALU_DEP_4)
	v_dual_add_f32 v138, v67, v65 :: v_dual_add_f32 v139, v112, v71
	v_sub_f32_e32 v92, v64, v66
	v_add_f32_e32 v140, v120, v72
	v_fma_f32 v128, 0xbf788fa5, v90, -v106
	s_delay_alu instid0(VALU_DEP_4) | instskip(SKIP_1) | instid1(VALU_DEP_3)
	v_mul_f32_e32 v135, 0xbf3f9e67, v138
	v_mul_f32_e32 v112, 0xbf788fa5, v138
	v_dual_mul_f32 v130, 0xbf29c268, v137 :: v_dual_add_f32 v71, v128, v44
	v_mul_f32_e32 v128, 0x3f62ad3f, v138
	s_delay_alu instid0(VALU_DEP_2) | instskip(NEXT) | instid1(VALU_DEP_2)
	v_fma_f32 v143, 0xbf3f9e67, v90, -v130
	v_fmamk_f32 v142, v92, 0x3eedf032, v128
	s_delay_alu instid0(VALU_DEP_1) | instskip(SKIP_2) | instid1(VALU_DEP_3)
	v_dual_add_f32 v47, v142, v47 :: v_dual_fmamk_f32 v44, v92, 0xbe750f2a, v112
	v_fmamk_f32 v144, v92, 0xbf29c268, v135
	v_mul_f32_e32 v120, 0x3eedf032, v137
	v_add_f32_e32 v72, v44, v45
	s_delay_alu instid0(VALU_DEP_3) | instskip(NEXT) | instid1(VALU_DEP_3)
	v_add_f32_e32 v45, v144, v140
	v_fma_f32 v141, 0x3f62ad3f, v90, -v120
	v_add_f32_e32 v44, v143, v139
	s_delay_alu instid0(VALU_DEP_2)
	v_add_f32_e32 v46, v141, v46
	s_and_saveexec_b32 s0, vcc_lo
	s_cbranch_execz .LBB0_17
; %bb.16:
	v_dual_mul_f32 v154, 0xbe750f2a, v82 :: v_dual_mul_f32 v181, 0xbe750f2a, v111
	v_dual_mul_f32 v184, 0x3eedf032, v117 :: v_dual_mul_f32 v203, 0x3eedf032, v132
	v_mul_f32_e32 v143, 0x3f62ad3f, v79
	v_dual_mul_f32 v145, 0x3f116cb1, v79 :: v_dual_mul_f32 v182, 0x3f116cb1, v133
	s_delay_alu instid0(VALU_DEP_4) | instskip(SKIP_3) | instid1(VALU_DEP_4)
	v_dual_fmamk_f32 v141, v79, 0xbf788fa5, v181 :: v_dual_sub_f32 v118, v118, v154
	v_mul_f32_e32 v152, 0xbf6f5d39, v82
	v_mul_f32_e32 v169, 0xbf788fa5, v119
	v_dual_mul_f32 v183, 0xbf29c268, v92 :: v_dual_mul_f32 v186, 0xbf29c268, v122
	v_dual_add_f32 v141, v40, v141 :: v_dual_fmamk_f32 v142, v81, 0x3f62ad3f, v184
	v_mul_f32_e32 v190, 0xbf6f5d39, v132
	v_mul_f32_e32 v132, 0x3e750f2a, v132
	;; [unrolled: 1-line block ×5, first 2 shown]
	v_dual_mul_f32 v158, 0xbe750f2a, v84 :: v_dual_add_f32 v141, v142, v141
	v_dual_mul_f32 v165, 0x3f62ad3f, v85 :: v_dual_mul_f32 v174, 0x3f62ad3f, v123
	v_dual_fmamk_f32 v139, v80, 0x3e750f2a, v169 :: v_dual_mul_f32 v202, 0x3e750f2a, v126
	v_dual_fmamk_f32 v142, v83, 0xbf3f9e67, v186 :: v_dual_mul_f32 v189, 0xbf3f9e67, v119
	v_mul_f32_e32 v191, 0x3df6dbef, v123
	v_dual_fmamk_f32 v199, v81, 0x3df6dbef, v198 :: v_dual_add_f32 v42, v42, v40
	v_mul_f32_e32 v188, 0x3f52af12, v126
	v_dual_mul_f32 v144, 0xbeedf032, v80 :: v_dual_add_f32 v139, v41, v139
	v_dual_mul_f32 v162, 0xbf6f5d39, v86 :: v_dual_add_f32 v141, v142, v141
	v_dual_mul_f32 v167, 0xbf3f9e67, v87 :: v_dual_mul_f32 v178, 0xbf3f9e67, v129
	s_delay_alu instid0(VALU_DEP_4)
	v_fmamk_f32 v142, v85, 0x3f116cb1, v188
	v_dual_fmamk_f32 v193, v82, 0xbf7e222b, v191 :: v_dual_mul_f32 v126, 0xbf7e222b, v126
	v_fmamk_f32 v140, v82, 0xbeedf032, v174
	v_mul_f32_e32 v146, 0xbf52af12, v80
	v_mul_f32_e32 v159, 0xbeb58ec6, v83
	v_dual_mul_f32 v168, 0xbf29c268, v88 :: v_dual_add_f32 v141, v142, v141
	s_delay_alu instid0(VALU_DEP_4) | instskip(SKIP_3) | instid1(VALU_DEP_4)
	v_dual_add_f32 v139, v140, v139 :: v_dual_fmamk_f32 v142, v87, 0xbeb58ec6, v190
	v_fmamk_f32 v140, v84, 0x3f29c268, v178
	v_dual_mul_f32 v171, 0x3f7e222b, v88 :: v_dual_mul_f32 v192, 0x3f7e222b, v137
	v_mul_f32_e32 v185, 0xbeb58ec6, v136
	v_dual_add_f32 v141, v142, v141 :: v_dual_mul_f32 v148, 0xbf7e222b, v80
	s_delay_alu instid0(VALU_DEP_4) | instskip(NEXT) | instid1(VALU_DEP_4)
	v_dual_add_f32 v139, v140, v139 :: v_dual_fmamk_f32 v140, v86, 0xbf52af12, v182
	v_dual_mul_f32 v147, 0x3df6dbef, v79 :: v_dual_fmamk_f32 v142, v90, 0x3df6dbef, v192
	v_mul_f32_e32 v156, 0xbf7e222b, v84
	v_dual_mul_f32 v170, 0x3df6dbef, v87 :: v_dual_mul_f32 v187, 0x3df6dbef, v138
	s_delay_alu instid0(VALU_DEP_4)
	v_add_f32_e32 v139, v140, v139
	v_fmamk_f32 v140, v88, 0x3f6f5d39, v185
	v_mul_f32_e32 v160, 0x3f6f5d39, v84
	v_mul_f32_e32 v164, 0x3f29c268, v86
	v_mul_f32_e32 v204, 0xbf6f5d39, v137
	v_mul_f32_e32 v137, 0x3f52af12, v137
	v_add_f32_e32 v139, v140, v139
	v_fmamk_f32 v140, v92, 0xbf7e222b, v187
	v_mul_f32_e32 v151, 0xbeb58ec6, v81
	v_sub_f32_e32 v109, v109, v148
	v_mul_f32_e32 v195, 0xbf29c268, v111
	v_mul_f32_e32 v123, 0xbf3f9e67, v123
	v_add_f32_e32 v140, v140, v139
	v_fmamk_f32 v139, v80, 0x3f29c268, v189
	v_dual_mul_f32 v176, 0xbe750f2a, v92 :: v_dual_add_f32 v109, v41, v109
	s_delay_alu instid0(VALU_DEP_4) | instskip(NEXT) | instid1(VALU_DEP_3)
	v_fmamk_f32 v205, v82, 0xbf29c268, v123
	v_dual_mul_f32 v200, 0xbf52af12, v122 :: v_dual_add_f32 v139, v41, v139
	s_delay_alu instid0(VALU_DEP_3) | instskip(SKIP_1) | instid1(VALU_DEP_3)
	v_dual_sub_f32 v100, v100, v146 :: v_dual_add_f32 v109, v118, v109
	v_sub_f32_e32 v118, v125, v160
	v_dual_mul_f32 v194, 0x3f116cb1, v129 :: v_dual_add_f32 v193, v193, v139
	v_add_f32_e32 v139, v142, v141
	v_fmamk_f32 v141, v79, 0xbf3f9e67, v195
	v_dual_mul_f32 v166, 0x3eedf032, v86 :: v_dual_mul_f32 v179, 0x3eedf032, v92
	v_dual_mul_f32 v150, 0xbf52af12, v82 :: v_dual_mul_f32 v173, 0xbf52af12, v88
	s_delay_alu instid0(VALU_DEP_3) | instskip(SKIP_3) | instid1(VALU_DEP_4)
	v_add_f32_e32 v141, v40, v141
	v_mul_f32_e32 v177, 0x3f62ad3f, v90
	v_add_f32_e32 v109, v118, v109
	v_sub_f32_e32 v131, v131, v166
	v_dual_add_f32 v52, v52, v42 :: v_dual_add_f32 v141, v199, v141
	v_dual_fmamk_f32 v199, v83, 0x3f116cb1, v200 :: v_dual_add_f32 v100, v41, v100
	s_delay_alu instid0(VALU_DEP_3) | instskip(SKIP_1) | instid1(VALU_DEP_3)
	v_add_f32_e32 v109, v131, v109
	v_dual_sub_f32 v131, v134, v173 :: v_dual_fmac_f32 v174, 0x3eedf032, v82
	v_add_f32_e32 v141, v199, v141
	v_fmamk_f32 v199, v85, 0xbf788fa5, v202
	s_delay_alu instid0(VALU_DEP_3) | instskip(SKIP_2) | instid1(VALU_DEP_4)
	v_dual_fmac_f32 v178, 0xbf29c268, v84 :: v_dual_add_f32 v109, v131, v109
	v_mul_f32_e32 v201, 0xbeb58ec6, v138
	v_sub_f32_e32 v105, v105, v152
	v_add_f32_e32 v141, v199, v141
	v_fmamk_f32 v199, v87, 0x3f62ad3f, v203
	v_fmamk_f32 v196, v84, 0x3f52af12, v194
	v_fmac_f32_e32 v194, 0xbf52af12, v84
	v_dual_add_f32 v100, v105, v100 :: v_dual_sub_f32 v105, v110, v158
	s_delay_alu instid0(VALU_DEP_4) | instskip(NEXT) | instid1(VALU_DEP_4)
	v_add_f32_e32 v141, v199, v141
	v_dual_mul_f32 v155, 0x3df6dbef, v83 :: v_dual_add_f32 v142, v196, v193
	v_fmamk_f32 v193, v86, 0xbe750f2a, v197
	v_mul_f32_e32 v196, 0x3f62ad3f, v136
	v_mul_f32_e32 v153, 0xbf788fa5, v81
	v_dual_mul_f32 v119, 0xbeb58ec6, v119 :: v_dual_add_f32 v100, v105, v100
	s_delay_alu instid0(VALU_DEP_3) | instskip(SKIP_3) | instid1(VALU_DEP_4)
	v_dual_add_f32 v142, v193, v142 :: v_dual_fmamk_f32 v193, v88, 0xbeedf032, v196
	v_mul_f32_e32 v157, 0xbf788fa5, v83
	v_sub_f32_e32 v105, v116, v164
	v_dual_mul_f32 v129, 0x3f62ad3f, v129 :: v_dual_add_f32 v52, v54, v52
	v_dual_add_f32 v142, v193, v142 :: v_dual_fmamk_f32 v193, v92, 0x3f6f5d39, v201
	v_mul_f32_e32 v161, 0xbeb58ec6, v85
	v_mul_f32_e32 v111, 0xbf6f5d39, v111
	v_dual_fmamk_f32 v199, v90, 0xbeb58ec6, v204 :: v_dual_add_f32 v54, v143, v89
	s_delay_alu instid0(VALU_DEP_4) | instskip(SKIP_1) | instid1(VALU_DEP_3)
	v_dual_add_f32 v142, v193, v142 :: v_dual_fmamk_f32 v193, v80, 0x3f6f5d39, v119
	v_dual_add_f32 v100, v105, v100 :: v_dual_mul_f32 v149, 0x3f116cb1, v81
	v_dual_mul_f32 v172, 0x3f116cb1, v87 :: v_dual_add_f32 v141, v199, v141
	s_delay_alu instid0(VALU_DEP_3) | instskip(SKIP_3) | instid1(VALU_DEP_4)
	v_dual_mul_f32 v122, 0x3eedf032, v122 :: v_dual_add_f32 v193, v41, v193
	v_dual_fmamk_f32 v199, v79, 0xbeb58ec6, v111 :: v_dual_add_f32 v52, v60, v52
	v_mul_f32_e32 v206, 0x3f29c268, v117
	v_add_f32_e32 v60, v149, v93
	v_add_f32_e32 v193, v205, v193
	s_delay_alu instid0(VALU_DEP_4) | instskip(SKIP_4) | instid1(VALU_DEP_4)
	v_add_f32_e32 v199, v40, v199
	v_fmamk_f32 v205, v84, 0xbeedf032, v129
	v_mul_f32_e32 v136, 0xbf788fa5, v136
	v_fmamk_f32 v154, v85, 0x3df6dbef, v126
	v_add_f32_e32 v54, v40, v54
	v_dual_mul_f32 v138, 0x3f116cb1, v138 :: v_dual_add_f32 v117, v205, v193
	v_fmamk_f32 v205, v81, 0xbf3f9e67, v206
	v_mul_f32_e32 v175, 0xbf788fa5, v90
	v_fmamk_f32 v193, v86, 0x3f7e222b, v133
	v_add_f32_e32 v52, v62, v52
	v_add_f32_e32 v54, v60, v54
	v_dual_add_f32 v148, v205, v199 :: v_dual_fmamk_f32 v199, v83, 0x3f62ad3f, v122
	s_delay_alu instid0(VALU_DEP_4)
	v_add_f32_e32 v117, v193, v117
	v_fmamk_f32 v193, v88, 0xbe750f2a, v136
	v_add_f32_e32 v103, v147, v103
	v_add_f32_e32 v60, v155, v95
	;; [unrolled: 1-line block ×4, first 2 shown]
	s_delay_alu instid0(VALU_DEP_4) | instskip(NEXT) | instid1(VALU_DEP_3)
	v_dual_add_f32 v108, v153, v108 :: v_dual_add_f32 v103, v40, v103
	v_dual_add_f32 v54, v60, v54 :: v_dual_add_f32 v125, v154, v148
	v_fmamk_f32 v148, v87, 0xbf788fa5, v132
	v_dual_fmamk_f32 v154, v92, 0xbf52af12, v138 :: v_dual_add_f32 v117, v193, v117
	s_delay_alu instid0(VALU_DEP_4) | instskip(NEXT) | instid1(VALU_DEP_3)
	v_dual_add_f32 v52, v66, v52 :: v_dual_add_f32 v103, v108, v103
	v_dual_add_f32 v125, v148, v125 :: v_dual_fmamk_f32 v148, v90, 0x3f116cb1, v137
	s_delay_alu instid0(VALU_DEP_3) | instskip(SKIP_2) | instid1(VALU_DEP_4)
	v_dual_add_f32 v118, v154, v117 :: v_dual_add_f32 v115, v159, v115
	v_fmac_f32_e32 v182, 0x3f52af12, v86
	v_fmac_f32_e32 v185, 0xbf6f5d39, v88
	v_add_f32_e32 v117, v148, v125
	v_sub_f32_e32 v125, v135, v183
	v_add_f32_e32 v103, v115, v103
	v_fmac_f32_e32 v187, 0x3f7e222b, v92
	v_sub_f32_e32 v91, v91, v144
	v_add_f32_e32 v56, v56, v52
	v_add_f32_e32 v108, v125, v109
	v_dual_add_f32 v109, v165, v121 :: v_dual_sub_f32 v60, v112, v176
	v_fmac_f32_e32 v169, 0xbe750f2a, v80
	v_fmac_f32_e32 v189, 0xbf29c268, v80
	;; [unrolled: 1-line block ×3, first 2 shown]
	s_delay_alu instid0(VALU_DEP_4) | instskip(SKIP_4) | instid1(VALU_DEP_4)
	v_add_f32_e32 v103, v109, v103
	v_add_f32_e32 v109, v172, v127
	v_fmac_f32_e32 v129, 0x3eedf032, v84
	v_fmac_f32_e32 v191, 0x3f7e222b, v82
	v_dual_mul_f32 v163, 0xbf3f9e67, v85 :: v_dual_mul_f32 v180, 0xbf3f9e67, v90
	v_dual_add_f32 v103, v109, v103 :: v_dual_fmac_f32 v136, 0x3e750f2a, v88
	v_add_f32_e32 v109, v43, v41
	v_fmac_f32_e32 v133, 0xbf7e222b, v86
	v_fmac_f32_e32 v197, 0x3e750f2a, v86
	;; [unrolled: 1-line block ×3, first 2 shown]
	s_delay_alu instid0(VALU_DEP_4) | instskip(NEXT) | instid1(VALU_DEP_1)
	v_dual_fmac_f32 v196, 0x3eedf032, v88 :: v_dual_add_f32 v53, v53, v109
	v_dual_fmac_f32 v138, 0x3f52af12, v92 :: v_dual_add_f32 v53, v55, v53
	v_add_f32_e32 v55, v41, v91
	v_sub_f32_e32 v91, v94, v150
	s_delay_alu instid0(VALU_DEP_3) | instskip(SKIP_1) | instid1(VALU_DEP_3)
	v_add_f32_e32 v53, v61, v53
	v_sub_f32_e32 v61, v96, v156
	v_add_f32_e32 v55, v91, v55
	s_delay_alu instid0(VALU_DEP_3) | instskip(NEXT) | instid1(VALU_DEP_2)
	v_add_f32_e32 v53, v63, v53
	v_add_f32_e32 v55, v61, v55
	v_sub_f32_e32 v61, v99, v162
	s_delay_alu instid0(VALU_DEP_3) | instskip(NEXT) | instid1(VALU_DEP_2)
	v_add_f32_e32 v53, v65, v53
	v_add_f32_e32 v55, v61, v55
	v_sub_f32_e32 v61, v104, v168
	s_delay_alu instid0(VALU_DEP_3) | instskip(NEXT) | instid1(VALU_DEP_2)
	v_add_f32_e32 v53, v67, v53
	v_add_f32_e32 v55, v61, v55
	s_delay_alu instid0(VALU_DEP_2) | instskip(SKIP_2) | instid1(VALU_DEP_3)
	v_add_f32_e32 v53, v57, v53
	v_add_f32_e32 v57, v161, v98
	v_fma_f32 v61, 0x3f116cb1, v90, -v137
	v_dual_add_f32 v52, v60, v55 :: v_dual_add_f32 v53, v59, v53
	s_delay_alu instid0(VALU_DEP_3) | instskip(SKIP_2) | instid1(VALU_DEP_4)
	v_add_f32_e32 v54, v57, v54
	v_add_f32_e32 v57, v167, v102
	;; [unrolled: 1-line block ×4, first 2 shown]
	s_delay_alu instid0(VALU_DEP_3) | instskip(SKIP_2) | instid1(VALU_DEP_4)
	v_dual_add_f32 v53, v58, v56 :: v_dual_add_f32 v54, v57, v54
	v_fma_f32 v57, 0x3df6dbef, v81, -v198
	v_fma_f32 v56, 0xbeb58ec6, v87, -v190
	v_add_f32_e32 v49, v51, v49
	s_delay_alu instid0(VALU_DEP_4) | instskip(SKIP_3) | instid1(VALU_DEP_4)
	v_add_f32_e32 v48, v48, v53
	v_add_f32_e32 v53, v41, v169
	;; [unrolled: 1-line block ×3, first 2 shown]
	v_fma_f32 v54, 0xbf788fa5, v79, -v181
	v_dual_add_f32 v55, v41, v189 :: v_dual_add_f32 v48, v50, v48
	s_delay_alu instid0(VALU_DEP_4) | instskip(NEXT) | instid1(VALU_DEP_3)
	v_dual_add_f32 v50, v174, v53 :: v_dual_add_f32 v41, v41, v119
	v_add_f32_e32 v53, v40, v54
	v_fma_f32 v54, 0x3f62ad3f, v81, -v184
	s_delay_alu instid0(VALU_DEP_3) | instskip(SKIP_2) | instid1(VALU_DEP_4)
	v_dual_add_f32 v55, v191, v55 :: v_dual_add_f32 v50, v178, v50
	v_add_f32_e32 v97, v145, v97
	v_and_b32_e32 v58, 0xffff, v77
	v_add_f32_e32 v53, v54, v53
	v_fma_f32 v54, 0xbf3f9e67, v83, -v186
	s_delay_alu instid0(VALU_DEP_4) | instskip(SKIP_2) | instid1(VALU_DEP_4)
	v_dual_add_f32 v50, v182, v50 :: v_dual_add_f32 v97, v40, v97
	v_add_f32_e32 v55, v194, v55
	v_add_f32_e32 v49, v74, v49
	;; [unrolled: 1-line block ×3, first 2 shown]
	v_fma_f32 v54, 0x3f116cb1, v85, -v188
	v_add_f32_e32 v50, v185, v50
	v_add_f32_e32 v55, v197, v55
	;; [unrolled: 1-line block ×3, first 2 shown]
	s_delay_alu instid0(VALU_DEP_4) | instskip(NEXT) | instid1(VALU_DEP_4)
	v_dual_add_f32 v53, v54, v53 :: v_dual_lshlrev_b32 v58, 3, v58
	v_add_f32_e32 v54, v187, v50
	v_fma_f32 v50, 0xbf3f9e67, v79, -v195
	v_add_f32_e32 v101, v151, v101
	v_add_f32_e32 v55, v196, v55
	;; [unrolled: 1-line block ×3, first 2 shown]
	v_fma_f32 v56, 0x3df6dbef, v90, -v192
	v_add_f32_e32 v50, v40, v50
	s_delay_alu instid0(VALU_DEP_1) | instskip(SKIP_2) | instid1(VALU_DEP_2)
	v_dual_add_f32 v53, v56, v53 :: v_dual_add_f32 v50, v57, v50
	v_fma_f32 v57, 0x3f116cb1, v83, -v200
	v_fma_f32 v56, 0xbeb58ec6, v79, -v111
	v_add_f32_e32 v50, v57, v50
	v_fma_f32 v57, 0xbf788fa5, v85, -v202
	v_sub_f32_e32 v105, v124, v171
	s_delay_alu instid0(VALU_DEP_4) | instskip(SKIP_4) | instid1(VALU_DEP_4)
	v_add_f32_e32 v40, v40, v56
	v_fma_f32 v56, 0xbf3f9e67, v81, -v206
	v_add_f32_e32 v97, v101, v97
	v_add_f32_e32 v50, v57, v50
	v_dual_add_f32 v100, v105, v100 :: v_dual_fmac_f32 v123, 0x3f29c268, v82
	v_add_f32_e32 v40, v56, v40
	v_fma_f32 v56, 0x3f62ad3f, v83, -v122
	v_add_f32_e32 v101, v157, v107
	v_fma_f32 v57, 0x3f62ad3f, v87, -v203
	v_add_f32_e32 v41, v123, v41
	v_sub_f32_e32 v105, v128, v179
	v_add_f32_e32 v40, v56, v40
	v_fma_f32 v56, 0x3df6dbef, v85, -v126
	v_add_f32_e32 v50, v57, v50
	v_add_f32_e32 v41, v129, v41
	;; [unrolled: 1-line block ×3, first 2 shown]
	s_delay_alu instid0(VALU_DEP_4) | instskip(SKIP_1) | instid1(VALU_DEP_4)
	v_dual_add_f32 v101, v163, v114 :: v_dual_add_f32 v40, v56, v40
	v_fma_f32 v56, 0xbf788fa5, v87, -v132
	v_add_f32_e32 v41, v133, v41
	v_fma_f32 v57, 0xbeb58ec6, v90, -v204
	v_add_f32_e32 v107, v180, v130
	v_add_f32_e32 v43, v105, v100
	s_delay_alu instid0(VALU_DEP_4) | instskip(SKIP_3) | instid1(VALU_DEP_4)
	v_dual_add_f32 v100, v177, v120 :: v_dual_add_f32 v59, v136, v41
	v_add_f32_e32 v97, v101, v97
	v_dual_add_f32 v101, v170, v113 :: v_dual_add_f32 v60, v56, v40
	v_add_f32_e32 v40, v57, v50
	v_add_f32_e32 v56, v138, v59
	v_add_f32_e32 v107, v107, v103
	s_delay_alu instid0(VALU_DEP_4) | instskip(SKIP_1) | instid1(VALU_DEP_2)
	v_add_f32_e32 v97, v101, v97
	v_add_f32_e32 v41, v201, v55
	v_dual_add_f32 v55, v61, v60 :: v_dual_add_f32 v42, v100, v97
	ds_store_2addr_b64 v58, v[48:49], v[51:52] offset1:1
	ds_store_2addr_b64 v58, v[42:43], v[107:108] offset0:2 offset1:3
	ds_store_2addr_b64 v58, v[117:118], v[141:142] offset0:4 offset1:5
	;; [unrolled: 1-line block ×5, first 2 shown]
	ds_store_b64 v58, v[71:72] offset:96
.LBB0_17:
	s_or_b32 exec_lo, exec_lo, s0
	s_waitcnt lgkmcnt(0)
	s_barrier
	buffer_gl0_inv
	ds_load_2addr_b64 v[40:43], v75 offset1:169
	v_add_nc_u32_e32 v48, 0x800, v75
	s_waitcnt lgkmcnt(0)
	v_mul_f32_e32 v66, v21, v43
	v_mul_f32_e32 v21, v21, v42
	ds_load_2addr_b64 v[50:53], v48 offset0:82 offset1:251
	v_add_nc_u32_e32 v49, 0x1400, v75
	v_add_nc_u32_e32 v58, 0x1e00, v75
	v_fmac_f32_e32 v66, v20, v42
	v_fma_f32 v20, v20, v43, -v21
	s_waitcnt lgkmcnt(0)
	v_mul_f32_e32 v21, v23, v51
	v_mul_f32_e32 v23, v23, v50
	ds_load_2addr_b64 v[54:57], v49 offset0:36 offset1:205
	ds_load_2addr_b64 v[58:61], v58 offset0:54 offset1:223
	v_dual_mul_f32 v42, v17, v53 :: v_dual_add_nc_u32 v49, 0x2800, v75
	ds_load_2addr_b64 v[62:65], v49 offset0:72 offset1:241
	v_dual_fmac_f32 v42, v16, v52 :: v_dual_fmac_f32 v21, v22, v50
	v_fma_f32 v22, v22, v51, -v23
	s_waitcnt lgkmcnt(0)
	s_barrier
	buffer_gl0_inv
	v_mul_f32_e32 v67, v13, v57
	v_mul_f32_e32 v73, v15, v59
	;; [unrolled: 1-line block ×5, first 2 shown]
	v_fmac_f32_e32 v67, v12, v56
	v_fmac_f32_e32 v73, v14, v58
	v_mul_f32_e32 v13, v13, v56
	v_fmac_f32_e32 v43, v18, v54
	v_mul_f32_e32 v54, v70, v64
	v_fma_f32 v14, v14, v59, -v15
	v_add_f32_e32 v23, v40, v21
	v_fma_f32 v12, v12, v57, -v13
	v_mul_f32_e32 v13, v3, v62
	v_mul_f32_e32 v3, v3, v63
	v_sub_f32_e32 v51, v21, v43
	v_dual_add_f32 v15, v43, v73 :: v_dual_add_f32 v56, v41, v22
	s_delay_alu instid0(VALU_DEP_4) | instskip(SKIP_1) | instid1(VALU_DEP_3)
	v_fma_f32 v13, v2, v63, -v13
	v_mul_f32_e32 v17, v17, v52
	v_fma_f32 v15, -0.5, v15, v40
	s_delay_alu instid0(VALU_DEP_3) | instskip(NEXT) | instid1(VALU_DEP_3)
	v_sub_f32_e32 v50, v22, v13
	v_fma_f32 v16, v16, v53, -v17
	v_fmac_f32_e32 v3, v2, v62
	v_fma_f32 v17, v18, v55, -v19
	v_mul_f32_e32 v18, v1, v61
	s_delay_alu instid0(VALU_DEP_3) | instskip(NEXT) | instid1(VALU_DEP_3)
	v_dual_sub_f32 v52, v3, v73 :: v_dual_add_f32 v53, v21, v3
	v_sub_f32_e32 v2, v17, v14
	s_delay_alu instid0(VALU_DEP_3) | instskip(NEXT) | instid1(VALU_DEP_3)
	v_dual_fmac_f32 v18, v0, v60 :: v_dual_sub_f32 v55, v73, v3
	v_add_f32_e32 v51, v51, v52
	s_delay_alu instid0(VALU_DEP_4) | instskip(SKIP_1) | instid1(VALU_DEP_2)
	v_fma_f32 v52, -0.5, v53, v40
	v_fma_f32 v40, v69, v65, -v54
	v_dual_add_f32 v57, v17, v14 :: v_dual_fmamk_f32 v54, v2, 0x3f737871, v52
	v_dual_mul_f32 v1, v1, v60 :: v_dual_fmac_f32 v52, 0xbf737871, v2
	s_delay_alu instid0(VALU_DEP_2) | instskip(NEXT) | instid1(VALU_DEP_2)
	v_dual_mul_f32 v19, v70, v65 :: v_dual_fmac_f32 v54, 0xbf167918, v50
	v_fma_f32 v0, v0, v61, -v1
	s_delay_alu instid0(VALU_DEP_2) | instskip(SKIP_3) | instid1(VALU_DEP_2)
	v_dual_fmac_f32 v52, 0x3f167918, v50 :: v_dual_fmac_f32 v19, v69, v64
	v_add_f32_e32 v1, v23, v43
	v_fmamk_f32 v23, v50, 0xbf737871, v15
	v_dual_fmac_f32 v15, 0x3f737871, v50 :: v_dual_add_f32 v50, v22, v13
	v_fmac_f32_e32 v23, 0xbf167918, v2
	s_delay_alu instid0(VALU_DEP_2) | instskip(SKIP_2) | instid1(VALU_DEP_4)
	v_dual_fmac_f32 v15, 0x3f167918, v2 :: v_dual_add_f32 v2, v56, v17
	v_sub_f32_e32 v56, v13, v14
	v_add_f32_e32 v1, v1, v73
	v_fmac_f32_e32 v23, 0x3e9e377a, v51
	s_delay_alu instid0(VALU_DEP_4) | instskip(SKIP_1) | instid1(VALU_DEP_4)
	v_dual_fmac_f32 v15, 0x3e9e377a, v51 :: v_dual_add_f32 v2, v2, v14
	v_sub_f32_e32 v51, v22, v17
	v_add_f32_e32 v53, v1, v3
	v_sub_f32_e32 v1, v43, v21
	v_sub_f32_e32 v3, v21, v3
	v_fma_f32 v50, -0.5, v50, v41
	s_delay_alu instid0(VALU_DEP_3) | instskip(SKIP_3) | instid1(VALU_DEP_4)
	v_add_f32_e32 v1, v1, v55
	v_fma_f32 v55, -0.5, v57, v41
	v_dual_add_f32 v57, v2, v13 :: v_dual_sub_f32 v2, v17, v22
	v_sub_f32_e32 v13, v14, v13
	v_fmac_f32_e32 v54, 0x3e9e377a, v1
	s_delay_alu instid0(VALU_DEP_4) | instskip(SKIP_4) | instid1(VALU_DEP_3)
	v_fmamk_f32 v21, v3, 0x3f737871, v55
	v_fmac_f32_e32 v52, 0x3e9e377a, v1
	v_sub_f32_e32 v43, v43, v73
	v_dual_fmac_f32 v55, 0xbf737871, v3 :: v_dual_add_f32 v14, v66, v42
	v_dual_add_f32 v1, v51, v56 :: v_dual_add_f32 v2, v2, v13
	v_fmac_f32_e32 v21, 0x3f167918, v43
	v_fmamk_f32 v51, v43, 0xbf737871, v50
	s_delay_alu instid0(VALU_DEP_4) | instskip(SKIP_3) | instid1(VALU_DEP_4)
	v_fmac_f32_e32 v55, 0xbf167918, v43
	v_fmac_f32_e32 v50, 0x3f737871, v43
	v_add_f32_e32 v13, v14, v67
	v_dual_fmac_f32 v21, 0x3e9e377a, v1 :: v_dual_add_f32 v14, v67, v18
	v_fmac_f32_e32 v55, 0x3e9e377a, v1
	v_sub_f32_e32 v17, v19, v18
	s_delay_alu instid0(VALU_DEP_4) | instskip(SKIP_4) | instid1(VALU_DEP_4)
	v_dual_add_f32 v1, v13, v18 :: v_dual_sub_f32 v56, v18, v19
	v_dual_sub_f32 v18, v67, v18 :: v_dual_fmac_f32 v51, 0x3f167918, v3
	v_fmac_f32_e32 v50, 0xbf167918, v3
	v_fma_f32 v3, -0.5, v14, v66
	v_dual_add_f32 v13, v42, v19 :: v_dual_sub_f32 v14, v16, v40
	v_fmac_f32_e32 v51, 0x3e9e377a, v2
	s_delay_alu instid0(VALU_DEP_4) | instskip(SKIP_3) | instid1(VALU_DEP_3)
	v_fmac_f32_e32 v50, 0x3e9e377a, v2
	v_sub_f32_e32 v2, v42, v67
	v_dual_add_f32 v22, v1, v19 :: v_dual_sub_f32 v1, v12, v0
	v_dual_fmac_f32 v66, -0.5, v13 :: v_dual_fmamk_f32 v13, v14, 0xbf737871, v3
	v_dual_add_f32 v2, v2, v17 :: v_dual_fmac_f32 v3, 0x3f737871, v14
	v_sub_f32_e32 v43, v67, v42
	s_delay_alu instid0(VALU_DEP_3) | instskip(NEXT) | instid1(VALU_DEP_4)
	v_fmamk_f32 v41, v1, 0x3f737871, v66
	v_fmac_f32_e32 v13, 0xbf167918, v1
	v_fmac_f32_e32 v66, 0xbf737871, v1
	v_fmac_f32_e32 v3, 0x3f167918, v1
	s_delay_alu instid0(VALU_DEP_4) | instskip(NEXT) | instid1(VALU_DEP_4)
	v_fmac_f32_e32 v41, 0xbf167918, v14
	v_fmac_f32_e32 v13, 0x3e9e377a, v2
	s_delay_alu instid0(VALU_DEP_4) | instskip(NEXT) | instid1(VALU_DEP_4)
	v_fmac_f32_e32 v66, 0x3f167918, v14
	v_fmac_f32_e32 v3, 0x3e9e377a, v2
	v_add_f32_e32 v17, v43, v56
	v_add_f32_e32 v2, v16, v40
	v_dual_sub_f32 v14, v42, v19 :: v_dual_add_f32 v19, v20, v16
	s_delay_alu instid0(VALU_DEP_3) | instskip(SKIP_2) | instid1(VALU_DEP_2)
	v_dual_sub_f32 v42, v40, v0 :: v_dual_fmac_f32 v41, 0x3e9e377a, v17
	v_dual_add_f32 v1, v12, v0 :: v_dual_fmac_f32 v66, 0x3e9e377a, v17
	v_sub_f32_e32 v56, v0, v40
	v_fma_f32 v1, -0.5, v1, v20
	v_fmac_f32_e32 v20, -0.5, v2
	v_sub_f32_e32 v2, v16, v12
	s_delay_alu instid0(VALU_DEP_3) | instskip(NEXT) | instid1(VALU_DEP_3)
	v_dual_sub_f32 v16, v12, v16 :: v_dual_fmamk_f32 v17, v14, 0x3f737871, v1
	v_fmamk_f32 v43, v18, 0xbf737871, v20
	v_fmac_f32_e32 v20, 0x3f737871, v18
	v_fmac_f32_e32 v1, 0xbf737871, v14
	v_add_f32_e32 v2, v2, v42
	s_delay_alu instid0(VALU_DEP_4) | instskip(NEXT) | instid1(VALU_DEP_4)
	v_dual_add_f32 v16, v16, v56 :: v_dual_fmac_f32 v43, 0x3f167918, v14
	v_fmac_f32_e32 v20, 0xbf167918, v14
	s_delay_alu instid0(VALU_DEP_4) | instskip(NEXT) | instid1(VALU_DEP_3)
	v_fmac_f32_e32 v1, 0xbf167918, v18
	v_fmac_f32_e32 v43, 0x3e9e377a, v16
	s_delay_alu instid0(VALU_DEP_2) | instskip(NEXT) | instid1(VALU_DEP_2)
	v_dual_fmac_f32 v20, 0x3e9e377a, v16 :: v_dual_fmac_f32 v1, 0x3e9e377a, v2
	v_mul_f32_e32 v14, 0xbf737871, v43
	s_delay_alu instid0(VALU_DEP_2) | instskip(NEXT) | instid1(VALU_DEP_3)
	v_mul_f32_e32 v61, 0xbe9e377a, v20
	v_mul_f32_e32 v62, 0xbf4f1bbd, v1
	v_add_f32_e32 v12, v19, v12
	v_mul_f32_e32 v19, 0xbf737871, v20
	v_fmac_f32_e32 v14, 0x3e9e377a, v41
	v_mul_f32_e32 v58, 0xbf167918, v1
	v_mul_f32_e32 v60, 0x3e9e377a, v43
	s_delay_alu instid0(VALU_DEP_4) | instskip(NEXT) | instid1(VALU_DEP_1)
	v_dual_add_f32 v0, v12, v0 :: v_dual_fmac_f32 v19, 0xbe9e377a, v66
	v_dual_fmac_f32 v61, 0x3f737871, v66 :: v_dual_add_f32 v56, v0, v40
	s_delay_alu instid0(VALU_DEP_2)
	v_dual_sub_f32 v20, v52, v19 :: v_dual_fmac_f32 v17, 0x3f167918, v18
	v_fmac_f32_e32 v62, 0x3f167918, v3
	v_add_f32_e32 v40, v54, v14
	v_fmac_f32_e32 v58, 0xbf4f1bbd, v3
	v_sub_f32_e32 v14, v54, v14
	v_fmac_f32_e32 v17, 0x3e9e377a, v2
	v_fmac_f32_e32 v60, 0x3f737871, v41
	v_add_f32_e32 v0, v53, v22
	v_add_f32_e32 v42, v52, v19
	;; [unrolled: 1-line block ×3, first 2 shown]
	v_mul_f32_e32 v12, 0xbf167918, v17
	v_mul_f32_e32 v59, 0x3f4f1bbd, v17
	v_add_f32_e32 v1, v57, v56
	v_add_f32_e32 v41, v51, v60
	;; [unrolled: 1-line block ×3, first 2 shown]
	v_fmac_f32_e32 v12, 0x3f4f1bbd, v13
	v_fmac_f32_e32 v59, 0x3f167918, v13
	v_add_f32_e32 v17, v55, v62
	v_sub_f32_e32 v18, v53, v22
	v_sub_f32_e32 v22, v15, v58
	s_delay_alu instid0(VALU_DEP_4)
	v_dual_add_f32 v2, v23, v12 :: v_dual_add_f32 v3, v21, v59
	v_sub_f32_e32 v12, v23, v12
	v_sub_f32_e32 v19, v57, v56
	v_sub_f32_e32 v13, v21, v59
	v_sub_f32_e32 v15, v51, v60
	v_sub_f32_e32 v21, v50, v61
	v_sub_f32_e32 v23, v55, v62
	ds_store_2addr_b64 v78, v[0:1], v[2:3] offset1:13
	ds_store_2addr_b64 v78, v[40:41], v[42:43] offset0:26 offset1:39
	ds_store_2addr_b64 v78, v[16:17], v[18:19] offset0:52 offset1:65
	;; [unrolled: 1-line block ×4, first 2 shown]
	s_waitcnt lgkmcnt(0)
	s_barrier
	buffer_gl0_inv
	s_and_saveexec_b32 s0, vcc_lo
	s_cbranch_execz .LBB0_19
; %bb.18:
	v_add_nc_u32_e32 v12, 0x1000, v75
	v_add_nc_u32_e32 v13, 0x1800, v75
	;; [unrolled: 1-line block ×3, first 2 shown]
	ds_load_2addr_b64 v[0:3], v75 offset1:130
	ds_load_2addr_b64 v[40:43], v48 offset0:4 offset1:134
	ds_load_2addr_b64 v[16:19], v12 offset0:8 offset1:138
	;; [unrolled: 1-line block ×5, first 2 shown]
	ds_load_b64 v[71:72], v75 offset:12480
.LBB0_19:
	s_or_b32 exec_lo, exec_lo, s0
	s_and_saveexec_b32 s0, vcc_lo
	s_cbranch_execz .LBB0_21
; %bb.20:
	s_waitcnt lgkmcnt(0)
	v_dual_mul_f32 v48, v39, v71 :: v_dual_mul_f32 v49, v33, v2
	v_dual_mul_f32 v50, v37, v46 :: v_dual_mul_f32 v51, v35, v40
	;; [unrolled: 1-line block ×3, first 2 shown]
	s_delay_alu instid0(VALU_DEP_3) | instskip(NEXT) | instid1(VALU_DEP_4)
	v_fma_f32 v48, v38, v72, -v48
	v_fma_f32 v49, v32, v3, -v49
	s_delay_alu instid0(VALU_DEP_4) | instskip(NEXT) | instid1(VALU_DEP_4)
	v_fma_f32 v51, v34, v41, -v51
	v_dual_mul_f32 v41, v35, v41 :: v_dual_fmac_f32 v52, v32, v2
	v_mul_f32_e32 v35, v37, v47
	v_fma_f32 v50, v36, v47, -v50
	v_dual_sub_f32 v55, v49, v48 :: v_dual_mul_f32 v62, v11, v13
	s_delay_alu instid0(VALU_DEP_4) | instskip(NEXT) | instid1(VALU_DEP_4)
	v_dual_fmac_f32 v41, v34, v40 :: v_dual_mul_f32 v40, v25, v42
	v_fmac_f32_e32 v35, v36, v46
	v_add_f32_e32 v53, v48, v49
	s_delay_alu instid0(VALU_DEP_4) | instskip(NEXT) | instid1(VALU_DEP_4)
	v_dual_sub_f32 v59, v51, v50 :: v_dual_fmac_f32 v62, v10, v12
	v_fma_f32 v40, v24, v43, -v40
	s_delay_alu instid0(VALU_DEP_4) | instskip(NEXT) | instid1(VALU_DEP_4)
	v_sub_f32_e32 v32, v41, v35
	v_dual_mul_f32 v34, 0xbf788fa5, v53 :: v_dual_add_f32 v37, v50, v51
	v_dual_fmac_f32 v39, v38, v71 :: v_dual_mul_f32 v38, v31, v44
	v_mul_f32_e32 v31, v31, v45
	v_mul_f32_e32 v61, 0x3eedf032, v59
	s_delay_alu instid0(VALU_DEP_3) | instskip(NEXT) | instid1(VALU_DEP_4)
	v_dual_mul_f32 v36, 0x3f62ad3f, v37 :: v_dual_sub_f32 v33, v52, v39
	v_fma_f32 v38, v30, v45, -v38
	v_mul_f32_e32 v71, 0xbf3f9e67, v53
	v_mul_f32_e32 v104, 0xbe750f2a, v59
	;; [unrolled: 1-line block ×3, first 2 shown]
	v_fmamk_f32 v2, v33, 0x3e750f2a, v34
	v_dual_mul_f32 v46, v9, v19 :: v_dual_fmac_f32 v31, v30, v44
	v_mul_f32_e32 v87, 0xbf3f9e67, v37
	s_delay_alu instid0(VALU_DEP_3) | instskip(SKIP_1) | instid1(VALU_DEP_4)
	v_dual_mul_f32 v99, 0xbf788fa5, v37 :: v_dual_add_f32 v2, v1, v2
	v_mul_f32_e32 v25, v25, v43
	v_dual_mul_f32 v43, v27, v16 :: v_dual_fmac_f32 v46, v8, v18
	v_mul_f32_e32 v111, 0xbeb58ec6, v37
	s_delay_alu instid0(VALU_DEP_3) | instskip(NEXT) | instid1(VALU_DEP_3)
	v_dual_mul_f32 v58, 0xbe750f2a, v55 :: v_dual_fmac_f32 v25, v24, v42
	v_fma_f32 v24, v26, v17, -v43
	v_fmamk_f32 v3, v32, 0xbeedf032, v36
	v_dual_mul_f32 v47, v7, v21 :: v_dual_fmac_f32 v36, 0x3eedf032, v32
	v_dual_add_f32 v49, v49, v1 :: v_dual_fmamk_f32 v114, v32, 0x3f6f5d39, v111
	s_delay_alu instid0(VALU_DEP_3) | instskip(SKIP_1) | instid1(VALU_DEP_4)
	v_add_f32_e32 v2, v3, v2
	v_mul_f32_e32 v27, v27, v17
	v_fmac_f32_e32 v47, v6, v20
	v_sub_f32_e32 v17, v25, v31
	v_mul_f32_e32 v102, 0xbf7e222b, v55
	s_delay_alu instid0(VALU_DEP_4) | instskip(SKIP_4) | instid1(VALU_DEP_4)
	v_dual_mul_f32 v72, 0x3df6dbef, v37 :: v_dual_fmac_f32 v27, v26, v16
	v_dual_mul_f32 v3, v29, v22 :: v_dual_mul_f32 v80, 0x3f7e222b, v59
	v_mul_f32_e32 v85, 0xbeb58ec6, v53
	v_mul_f32_e32 v78, 0xbf29c268, v55
	;; [unrolled: 1-line block ×3, first 2 shown]
	v_fma_f32 v30, v28, v23, -v3
	v_dual_mul_f32 v3, v7, v20 :: v_dual_mul_f32 v108, 0x3f116cb1, v53
	v_fmac_f32_e32 v34, 0xbe750f2a, v33
	s_delay_alu instid0(VALU_DEP_3) | instskip(NEXT) | instid1(VALU_DEP_3)
	v_add_f32_e32 v42, v30, v24
	v_fma_f32 v43, v6, v21, -v3
	v_mul_f32_e32 v23, v29, v23
	v_dual_add_f32 v45, v38, v40 :: v_dual_mul_f32 v6, v5, v14
	s_delay_alu instid0(VALU_DEP_4) | instskip(SKIP_1) | instid1(VALU_DEP_4)
	v_mul_f32_e32 v91, 0x3df6dbef, v42
	v_mul_f32_e32 v103, 0x3f62ad3f, v42
	v_fmac_f32_e32 v23, v28, v22
	v_mul_f32_e32 v22, v9, v18
	v_mul_f32_e32 v28, 0x3f116cb1, v42
	;; [unrolled: 1-line block ×3, first 2 shown]
	v_add_f32_e32 v18, v35, v41
	v_mul_f32_e32 v7, v11, v12
	v_fma_f32 v44, v8, v19, -v22
	v_sub_f32_e32 v8, v46, v47
	v_dual_sub_f32 v16, v27, v23 :: v_dual_sub_f32 v63, v40, v38
	v_add_f32_e32 v12, v23, v27
	v_add_f32_e32 v9, v39, v52
	v_sub_f32_e32 v69, v44, v43
	s_delay_alu instid0(VALU_DEP_4)
	v_fmamk_f32 v3, v16, 0xbf52af12, v28
	v_fmamk_f32 v26, v17, 0x3f29c268, v29
	v_fma_f32 v56, v4, v15, -v6
	v_mul_f32_e32 v64, 0xbf29c268, v63
	v_dual_fmamk_f32 v6, v9, 0xbf788fa5, v58 :: v_dual_sub_f32 v65, v24, v30
	v_dual_mul_f32 v70, 0xbf6f5d39, v69 :: v_dual_mul_f32 v15, v5, v15
	v_add_f32_e32 v2, v26, v2
	v_add_f32_e32 v26, v43, v44
	s_delay_alu instid0(VALU_DEP_4)
	v_mul_f32_e32 v66, 0x3f52af12, v65
	v_add_f32_e32 v11, v31, v25
	v_fmac_f32_e32 v15, v4, v14
	v_dual_add_f32 v5, v0, v6 :: v_dual_fmamk_f32 v6, v18, 0x3f62ad3f, v61
	v_fma_f32 v57, v10, v13, -v7
	v_mul_f32_e32 v54, 0xbeb58ec6, v26
	s_delay_alu instid0(VALU_DEP_4)
	v_sub_f32_e32 v10, v62, v15
	v_add_f32_e32 v2, v3, v2
	v_add_f32_e32 v4, v6, v5
	;; [unrolled: 1-line block ×3, first 2 shown]
	v_dual_fmamk_f32 v3, v8, 0x3f6f5d39, v54 :: v_dual_add_f32 v14, v15, v62
	v_fmamk_f32 v6, v33, 0x3f29c268, v71
	v_fmamk_f32 v5, v11, 0xbf3f9e67, v64
	s_delay_alu instid0(VALU_DEP_3) | instskip(SKIP_1) | instid1(VALU_DEP_3)
	v_dual_mul_f32 v67, 0x3df6dbef, v60 :: v_dual_add_f32 v2, v3, v2
	v_dual_sub_f32 v73, v57, v56 :: v_dual_mul_f32 v74, 0x3f116cb1, v45
	v_dual_add_f32 v4, v5, v4 :: v_dual_fmamk_f32 v5, v12, 0x3f116cb1, v66
	s_delay_alu instid0(VALU_DEP_3) | instskip(NEXT) | instid1(VALU_DEP_3)
	v_fmamk_f32 v3, v10, 0xbf7e222b, v67
	v_mul_f32_e32 v77, 0x3f7e222b, v73
	v_fmamk_f32 v7, v9, 0xbf3f9e67, v78
	s_delay_alu instid0(VALU_DEP_4) | instskip(SKIP_2) | instid1(VALU_DEP_4)
	v_dual_fmamk_f32 v19, v18, 0x3df6dbef, v80 :: v_dual_add_f32 v4, v5, v4
	v_add_f32_e32 v13, v47, v46
	v_add_f32_e32 v3, v3, v2
	v_dual_add_f32 v7, v0, v7 :: v_dual_mul_f32 v86, 0x3eedf032, v69
	v_dual_mul_f32 v93, 0xbf788fa5, v26 :: v_dual_fmamk_f32 v106, v18, 0xbf788fa5, v104
	s_delay_alu instid0(VALU_DEP_4) | instskip(SKIP_1) | instid1(VALU_DEP_3)
	v_dual_fmamk_f32 v5, v13, 0xbeb58ec6, v70 :: v_dual_mul_f32 v84, 0xbeb58ec6, v60
	v_mul_f32_e32 v83, 0x3e750f2a, v65
	v_fmamk_f32 v22, v8, 0xbe750f2a, v93
	s_delay_alu instid0(VALU_DEP_3)
	v_dual_fmamk_f32 v21, v18, 0xbf3f9e67, v92 :: v_dual_add_f32 v2, v5, v4
	v_dual_add_f32 v4, v1, v6 :: v_dual_fmamk_f32 v5, v32, 0xbf7e222b, v72
	v_fmamk_f32 v6, v14, 0x3df6dbef, v77
	v_fmamk_f32 v20, v13, 0x3f62ad3f, v86
	v_mul_f32_e32 v94, 0x3eedf032, v63
	v_mul_f32_e32 v88, 0x3f62ad3f, v45
	s_delay_alu instid0(VALU_DEP_4)
	v_dual_mul_f32 v89, 0xbf6f5d39, v73 :: v_dual_add_f32 v2, v6, v2
	v_add_f32_e32 v6, v19, v7
	v_add_f32_e32 v4, v5, v4
	v_fmamk_f32 v5, v17, 0x3f52af12, v74
	v_mul_f32_e32 v79, 0xbf788fa5, v42
	v_mul_f32_e32 v82, 0xbf52af12, v63
	v_fmamk_f32 v19, v33, 0x3f6f5d39, v85
	s_delay_alu instid0(VALU_DEP_4) | instskip(NEXT) | instid1(VALU_DEP_4)
	v_dual_mul_f32 v95, 0xbf7e222b, v65 :: v_dual_add_f32 v4, v5, v4
	v_fmamk_f32 v5, v16, 0xbe750f2a, v79
	v_mul_f32_e32 v81, 0x3f62ad3f, v26
	v_fmamk_f32 v7, v11, 0x3f116cb1, v82
	v_mul_f32_e32 v97, 0x3df6dbef, v53
	v_mul_f32_e32 v110, 0xbf52af12, v69
	s_delay_alu instid0(VALU_DEP_4)
	v_dual_add_f32 v4, v5, v4 :: v_dual_fmamk_f32 v5, v8, 0xbeedf032, v81
	v_mul_f32_e32 v120, 0xbe750f2a, v63
	v_mul_f32_e32 v122, 0x3f29c268, v65
	;; [unrolled: 1-line block ×4, first 2 shown]
	v_dual_add_f32 v4, v5, v4 :: v_dual_add_f32 v5, v7, v6
	v_fmamk_f32 v7, v10, 0x3f6f5d39, v84
	v_fmamk_f32 v6, v12, 0xbf788fa5, v83
	;; [unrolled: 1-line block ×4, first 2 shown]
	v_add_f32_e32 v49, v51, v49
	s_delay_alu instid0(VALU_DEP_4) | instskip(SKIP_3) | instid1(VALU_DEP_4)
	v_dual_mul_f32 v117, 0xbf6f5d39, v59 :: v_dual_add_f32 v6, v6, v5
	v_dual_add_f32 v5, v7, v4 :: v_dual_add_f32 v4, v1, v19
	v_fmamk_f32 v7, v32, 0xbf29c268, v87
	v_fmamk_f32 v19, v14, 0xbeb58ec6, v89
	;; [unrolled: 1-line block ×3, first 2 shown]
	v_mul_f32_e32 v107, 0x3f6f5d39, v63
	s_delay_alu instid0(VALU_DEP_4)
	v_dual_mul_f32 v105, 0x3f116cb1, v26 :: v_dual_add_f32 v4, v7, v4
	v_fmamk_f32 v7, v17, 0xbeedf032, v88
	v_mul_f32_e32 v101, 0x3f52af12, v73
	v_mul_f32_e32 v53, 0x3f62ad3f, v53
	v_mul_f32_e32 v37, 0x3f116cb1, v37
	v_mul_f32_e32 v118, 0x3df6dbef, v26
	v_dual_add_f32 v4, v7, v4 :: v_dual_fmamk_f32 v7, v16, 0x3f7e222b, v91
	s_delay_alu instid0(VALU_DEP_4) | instskip(NEXT) | instid1(VALU_DEP_4)
	v_dual_fmamk_f32 v123, v33, 0x3eedf032, v53 :: v_dual_mul_f32 v124, 0x3eedf032, v73
	v_fmamk_f32 v125, v32, 0x3f52af12, v37
	v_add_f32_e32 v51, v0, v52
	s_delay_alu instid0(VALU_DEP_4)
	v_add_f32_e32 v7, v7, v4
	v_mul_f32_e32 v115, 0xbf788fa5, v45
	v_add_f32_e32 v123, v1, v123
	v_fmamk_f32 v127, v14, 0x3f62ad3f, v124
	v_fmac_f32_e32 v67, 0x3f7e222b, v10
	v_dual_add_f32 v7, v22, v7 :: v_dual_add_f32 v6, v20, v6
	v_fmamk_f32 v20, v9, 0xbeb58ec6, v90
	v_mul_f32_e32 v96, 0x3f116cb1, v60
	v_fmamk_f32 v22, v9, 0x3df6dbef, v102
	s_delay_alu instid0(VALU_DEP_4) | instskip(NEXT) | instid1(VALU_DEP_4)
	v_dual_add_f32 v123, v125, v123 :: v_dual_add_f32 v4, v19, v6
	v_dual_add_f32 v20, v0, v20 :: v_dual_fmamk_f32 v19, v11, 0x3f62ad3f, v94
	s_delay_alu instid0(VALU_DEP_3) | instskip(SKIP_2) | instid1(VALU_DEP_4)
	v_add_f32_e32 v22, v0, v22
	v_fmac_f32_e32 v54, 0xbf6f5d39, v8
	v_fmac_f32_e32 v72, 0x3f7e222b, v32
	v_add_f32_e32 v6, v21, v20
	v_fmamk_f32 v20, v10, 0xbf52af12, v96
	v_fmamk_f32 v21, v33, 0x3f7e222b, v97
	v_fmac_f32_e32 v85, 0xbf6f5d39, v33
	s_delay_alu instid0(VALU_DEP_4) | instskip(SKIP_1) | instid1(VALU_DEP_4)
	v_dual_fmac_f32 v97, 0xbf7e222b, v33 :: v_dual_add_f32 v6, v19, v6
	v_fmamk_f32 v19, v12, 0x3df6dbef, v95
	v_dual_add_f32 v7, v20, v7 :: v_dual_add_f32 v20, v1, v21
	v_fmamk_f32 v21, v32, 0x3e750f2a, v99
	s_delay_alu instid0(VALU_DEP_3) | instskip(SKIP_4) | instid1(VALU_DEP_4)
	v_dual_fmac_f32 v29, 0xbf29c268, v17 :: v_dual_add_f32 v6, v19, v6
	v_fmamk_f32 v19, v13, 0xbf788fa5, v98
	v_fmac_f32_e32 v79, 0x3e750f2a, v16
	v_fmac_f32_e32 v81, 0x3eedf032, v8
	;; [unrolled: 1-line block ×3, first 2 shown]
	v_dual_fmac_f32 v91, 0xbf7e222b, v16 :: v_dual_add_f32 v6, v19, v6
	v_dual_add_f32 v19, v21, v20 :: v_dual_mul_f32 v100, 0xbeb58ec6, v45
	v_mul_f32_e32 v45, 0x3df6dbef, v45
	v_fmac_f32_e32 v93, 0x3e750f2a, v8
	v_fmac_f32_e32 v88, 0x3eedf032, v17
	v_fmac_f32_e32 v84, 0xbf6f5d39, v10
	v_fmamk_f32 v20, v17, 0xbf6f5d39, v100
	v_fmamk_f32 v125, v17, 0x3f7e222b, v45
	v_fmac_f32_e32 v45, 0xbf7e222b, v17
	v_fmac_f32_e32 v96, 0x3f52af12, v10
	s_delay_alu instid0(VALU_DEP_4) | instskip(SKIP_2) | instid1(VALU_DEP_2)
	v_dual_fmac_f32 v28, 0x3f52af12, v16 :: v_dual_add_f32 v19, v20, v19
	v_fmamk_f32 v20, v16, 0xbeedf032, v103
	v_fmac_f32_e32 v100, 0x3f6f5d39, v17
	v_dual_fmac_f32 v74, 0xbf52af12, v17 :: v_dual_add_f32 v19, v20, v19
	v_fmamk_f32 v20, v8, 0x3f52af12, v105
	v_fmamk_f32 v21, v14, 0x3f116cb1, v101
	s_delay_alu instid0(VALU_DEP_1) | instskip(SKIP_1) | instid1(VALU_DEP_4)
	v_add_f32_e32 v6, v21, v6
	v_dual_add_f32 v21, v106, v22 :: v_dual_fmamk_f32 v22, v11, 0xbeb58ec6, v107
	v_dual_mul_f32 v106, 0x3eedf032, v65 :: v_dual_add_f32 v19, v20, v19
	s_delay_alu instid0(VALU_DEP_2) | instskip(SKIP_1) | instid1(VALU_DEP_3)
	v_add_f32_e32 v20, v22, v21
	v_fmamk_f32 v22, v33, 0x3f52af12, v108
	v_fmamk_f32 v21, v12, 0x3f62ad3f, v106
	v_fmac_f32_e32 v108, 0xbf52af12, v33
	s_delay_alu instid0(VALU_DEP_3) | instskip(NEXT) | instid1(VALU_DEP_3)
	v_add_f32_e32 v22, v1, v22
	v_dual_add_f32 v21, v21, v20 :: v_dual_add_f32 v20, v112, v19
	s_delay_alu instid0(VALU_DEP_1) | instskip(NEXT) | instid1(VALU_DEP_3)
	v_add_f32_e32 v19, v113, v21
	v_dual_add_f32 v21, v114, v22 :: v_dual_mul_f32 v114, 0xbf29c268, v73
	v_fmamk_f32 v22, v17, 0x3e750f2a, v115
	s_delay_alu instid0(VALU_DEP_2) | instskip(NEXT) | instid1(VALU_DEP_2)
	v_fmamk_f32 v121, v14, 0xbf3f9e67, v114
	v_add_f32_e32 v21, v22, v21
	s_delay_alu instid0(VALU_DEP_2) | instskip(SKIP_1) | instid1(VALU_DEP_1)
	v_add_f32_e32 v19, v121, v19
	v_mul_f32_e32 v121, 0x3f62ad3f, v60
	v_fmamk_f32 v126, v10, 0xbeedf032, v121
	v_mul_f32_e32 v113, 0xbf3f9e67, v42
	v_mul_f32_e32 v42, 0xbeb58ec6, v42
	s_delay_alu instid0(VALU_DEP_2) | instskip(NEXT) | instid1(VALU_DEP_2)
	v_fmamk_f32 v22, v16, 0xbf29c268, v113
	v_fmamk_f32 v52, v16, 0x3f6f5d39, v42
	s_delay_alu instid0(VALU_DEP_2) | instskip(SKIP_3) | instid1(VALU_DEP_3)
	v_dual_fmac_f32 v42, 0xbf6f5d39, v16 :: v_dual_add_f32 v21, v22, v21
	v_fmamk_f32 v22, v8, 0xbf7e222b, v118
	v_mul_f32_e32 v112, 0xbf52af12, v55
	v_mul_f32_e32 v55, 0xbeedf032, v55
	v_dual_fmac_f32 v118, 0x3f7e222b, v8 :: v_dual_add_f32 v21, v22, v21
	s_delay_alu instid0(VALU_DEP_3) | instskip(SKIP_1) | instid1(VALU_DEP_2)
	v_fmamk_f32 v116, v9, 0x3f116cb1, v112
	v_fmac_f32_e32 v105, 0xbf52af12, v8
	v_add_f32_e32 v116, v0, v116
	v_fmac_f32_e32 v99, 0xbe750f2a, v32
	s_delay_alu instid0(VALU_DEP_2) | instskip(SKIP_1) | instid1(VALU_DEP_1)
	v_add_f32_e32 v116, v119, v116
	v_fmamk_f32 v119, v11, 0xbf788fa5, v120
	v_add_f32_e32 v22, v119, v116
	v_fmamk_f32 v116, v12, 0xbf3f9e67, v122
	v_mul_f32_e32 v119, 0x3f7e222b, v69
	v_fmac_f32_e32 v103, 0x3eedf032, v16
	v_fmac_f32_e32 v109, 0xbf29c268, v10
	s_delay_alu instid0(VALU_DEP_4) | instskip(NEXT) | instid1(VALU_DEP_4)
	v_add_f32_e32 v22, v116, v22
	v_fmamk_f32 v116, v13, 0x3df6dbef, v119
	s_delay_alu instid0(VALU_DEP_1) | instskip(SKIP_1) | instid1(VALU_DEP_2)
	v_dual_fmac_f32 v111, 0xbf6f5d39, v32 :: v_dual_add_f32 v116, v116, v22
	v_dual_add_f32 v22, v126, v21 :: v_dual_fmac_f32 v113, 0x3f29c268, v16
	v_dual_add_f32 v21, v127, v116 :: v_dual_add_nc_u32 v16, 0x2800, v75
	v_dual_add_f32 v116, v125, v123 :: v_dual_mul_f32 v123, 0xbf3f9e67, v26
	v_add_f32_e32 v26, v40, v49
	v_add_f32_e32 v40, v41, v51
	v_fmamk_f32 v51, v9, 0x3f62ad3f, v55
	s_delay_alu instid0(VALU_DEP_4) | instskip(SKIP_1) | instid1(VALU_DEP_4)
	v_add_f32_e32 v41, v52, v116
	v_fmamk_f32 v49, v8, 0x3f29c268, v123
	v_dual_add_f32 v24, v24, v26 :: v_dual_add_f32 v25, v25, v40
	v_mul_f32_e32 v40, 0xbf52af12, v59
	v_fmac_f32_e32 v115, 0xbe750f2a, v17
	s_delay_alu instid0(VALU_DEP_4) | instskip(NEXT) | instid1(VALU_DEP_4)
	v_add_f32_e32 v26, v49, v41
	v_dual_add_f32 v24, v44, v24 :: v_dual_add_f32 v25, v27, v25
	v_mul_f32_e32 v44, 0xbf7e222b, v63
	v_mul_f32_e32 v49, 0xbf788fa5, v60
	s_delay_alu instid0(VALU_DEP_3) | instskip(NEXT) | instid1(VALU_DEP_4)
	v_dual_add_f32 v41, v0, v51 :: v_dual_add_f32 v24, v57, v24
	v_add_f32_e32 v25, v46, v25
	v_fmac_f32_e32 v53, 0xbeedf032, v33
	v_fma_f32 v17, 0xbf3f9e67, v12, -v122
	s_delay_alu instid0(VALU_DEP_3) | instskip(SKIP_2) | instid1(VALU_DEP_3)
	v_dual_add_f32 v24, v56, v24 :: v_dual_add_f32 v25, v62, v25
	v_fmac_f32_e32 v37, 0xbf52af12, v32
	v_fma_f32 v32, 0xbf788fa5, v11, -v120
	v_add_f32_e32 v43, v43, v24
	s_delay_alu instid0(VALU_DEP_4) | instskip(NEXT) | instid1(VALU_DEP_1)
	v_add_f32_e32 v15, v15, v25
	v_add_f32_e32 v15, v47, v15
	s_delay_alu instid0(VALU_DEP_1) | instskip(SKIP_3) | instid1(VALU_DEP_4)
	v_add_f32_e32 v15, v23, v15
	v_add_f32_e32 v23, v1, v34
	v_dual_add_f32 v34, v1, v85 :: v_dual_fmamk_f32 v51, v10, 0x3e750f2a, v49
	v_fmac_f32_e32 v49, 0xbe750f2a, v10
	v_add_f32_e32 v15, v31, v15
	v_fma_f32 v31, 0x3df6dbef, v18, -v80
	s_delay_alu instid0(VALU_DEP_4) | instskip(SKIP_1) | instid1(VALU_DEP_4)
	v_add_f32_e32 v24, v51, v26
	v_dual_add_f32 v26, v30, v43 :: v_dual_mul_f32 v51, 0xbf29c268, v69
	v_add_f32_e32 v15, v35, v15
	v_fma_f32 v43, 0x3f116cb1, v13, -v110
	s_delay_alu instid0(VALU_DEP_3) | instskip(SKIP_3) | instid1(VALU_DEP_4)
	v_dual_fmac_f32 v71, 0xbf29c268, v33 :: v_dual_add_f32 v26, v38, v26
	v_fma_f32 v35, 0xbeb58ec6, v9, -v90
	v_fma_f32 v38, 0x3df6dbef, v12, -v95
	v_fmac_f32_e32 v121, 0x3eedf032, v10
	v_add_f32_e32 v26, v50, v26
	s_delay_alu instid0(VALU_DEP_1) | instskip(NEXT) | instid1(VALU_DEP_1)
	v_dual_fmamk_f32 v27, v18, 0x3f116cb1, v40 :: v_dual_add_f32 v26, v48, v26
	v_add_f32_e32 v27, v27, v41
	v_fmamk_f32 v41, v11, 0x3df6dbef, v44
	s_delay_alu instid0(VALU_DEP_1) | instskip(NEXT) | instid1(VALU_DEP_1)
	v_dual_mul_f32 v46, 0xbf6f5d39, v65 :: v_dual_add_f32 v27, v41, v27
	v_fmamk_f32 v41, v12, 0xbeb58ec6, v46
	s_delay_alu instid0(VALU_DEP_1) | instskip(SKIP_2) | instid1(VALU_DEP_2)
	v_add_f32_e32 v25, v41, v27
	v_fmamk_f32 v27, v13, 0xbf3f9e67, v51
	v_mul_f32_e32 v41, 0xbe750f2a, v73
	v_add_f32_e32 v25, v27, v25
	s_delay_alu instid0(VALU_DEP_2) | instskip(SKIP_1) | instid1(VALU_DEP_2)
	v_dual_fmamk_f32 v27, v14, 0xbf788fa5, v41 :: v_dual_add_f32 v30, v36, v23
	v_add_f32_e32 v36, v1, v97
	v_add_f32_e32 v23, v27, v25
	v_fma_f32 v25, 0xbf788fa5, v9, -v58
	s_delay_alu instid0(VALU_DEP_4) | instskip(SKIP_1) | instid1(VALU_DEP_3)
	v_add_f32_e32 v27, v29, v30
	v_fma_f32 v30, 0x3f62ad3f, v18, -v61
	v_add_f32_e32 v29, v0, v25
	v_add_f32_e32 v25, v39, v15
	s_delay_alu instid0(VALU_DEP_4)
	v_add_f32_e32 v15, v28, v27
	v_fma_f32 v28, 0xbf3f9e67, v11, -v64
	v_fma_f32 v39, 0x3f116cb1, v14, -v101
	v_add_f32_e32 v27, v30, v29
	v_add_f32_e32 v29, v1, v71
	;; [unrolled: 1-line block ×3, first 2 shown]
	v_fma_f32 v30, 0x3f116cb1, v12, -v66
	s_delay_alu instid0(VALU_DEP_4) | instskip(NEXT) | instid1(VALU_DEP_3)
	v_add_f32_e32 v27, v28, v27
	v_dual_add_f32 v29, v72, v29 :: v_dual_add_f32 v28, v67, v15
	v_fma_f32 v15, 0xbf3f9e67, v9, -v78
	v_fmac_f32_e32 v123, 0xbf29c268, v8
	s_delay_alu instid0(VALU_DEP_4) | instskip(SKIP_3) | instid1(VALU_DEP_3)
	v_add_f32_e32 v27, v30, v27
	v_fma_f32 v30, 0xbeb58ec6, v13, -v70
	v_add_f32_e32 v29, v74, v29
	v_add_f32_e32 v15, v0, v15
	;; [unrolled: 1-line block ×3, first 2 shown]
	v_fma_f32 v30, 0x3df6dbef, v14, -v77
	s_delay_alu instid0(VALU_DEP_3) | instskip(SKIP_2) | instid1(VALU_DEP_4)
	v_add_f32_e32 v15, v31, v15
	v_fma_f32 v31, 0x3f116cb1, v11, -v82
	v_add_f32_e32 v29, v79, v29
	v_add_f32_e32 v27, v30, v27
	v_fma_f32 v30, 0xbf788fa5, v12, -v83
	s_delay_alu instid0(VALU_DEP_4) | instskip(NEXT) | instid1(VALU_DEP_4)
	v_add_f32_e32 v15, v31, v15
	v_add_f32_e32 v29, v81, v29
	;; [unrolled: 1-line block ×3, first 2 shown]
	v_fma_f32 v34, 0x3f62ad3f, v13, -v86
	s_delay_alu instid0(VALU_DEP_3) | instskip(NEXT) | instid1(VALU_DEP_3)
	v_dual_add_f32 v15, v30, v15 :: v_dual_add_f32 v30, v84, v29
	v_add_f32_e32 v31, v88, v31
	v_add_f32_e32 v29, v0, v35
	v_fma_f32 v35, 0xbeb58ec6, v14, -v89
	s_delay_alu instid0(VALU_DEP_4) | instskip(SKIP_2) | instid1(VALU_DEP_2)
	v_add_f32_e32 v15, v34, v15
	v_fma_f32 v34, 0xbf3f9e67, v18, -v92
	v_add_f32_e32 v31, v91, v31
	v_add_f32_e32 v29, v34, v29
	v_fma_f32 v34, 0x3f62ad3f, v11, -v94
	s_delay_alu instid0(VALU_DEP_1) | instskip(SKIP_1) | instid1(VALU_DEP_2)
	v_dual_add_f32 v31, v93, v31 :: v_dual_add_f32 v34, v34, v29
	v_add_f32_e32 v29, v35, v15
	v_add_f32_e32 v35, v96, v31
	;; [unrolled: 1-line block ×3, first 2 shown]
	v_fma_f32 v36, 0xbf788fa5, v13, -v98
	v_add_f32_e32 v31, v38, v34
	v_fma_f32 v34, 0x3df6dbef, v9, -v102
	v_fma_f32 v38, 0xbf788fa5, v18, -v104
	v_add_f32_e32 v15, v100, v15
	s_delay_alu instid0(VALU_DEP_4) | instskip(NEXT) | instid1(VALU_DEP_4)
	v_add_f32_e32 v31, v36, v31
	v_add_f32_e32 v34, v0, v34
	;; [unrolled: 1-line block ×4, first 2 shown]
	v_fma_f32 v8, 0xbf3f9e67, v13, -v51
	s_delay_alu instid0(VALU_DEP_4) | instskip(SKIP_1) | instid1(VALU_DEP_4)
	v_dual_add_f32 v15, v103, v15 :: v_dual_add_f32 v34, v38, v34
	v_fma_f32 v38, 0xbeb58ec6, v11, -v107
	v_dual_add_f32 v1, v37, v1 :: v_dual_add_f32 v36, v111, v36
	v_fma_f32 v10, 0xbf788fa5, v14, -v41
	s_delay_alu instid0(VALU_DEP_3) | instskip(SKIP_1) | instid1(VALU_DEP_4)
	v_dual_add_f32 v15, v105, v15 :: v_dual_add_f32 v34, v38, v34
	v_fma_f32 v38, 0x3f62ad3f, v12, -v106
	v_dual_add_f32 v1, v45, v1 :: v_dual_add_f32 v36, v115, v36
	s_delay_alu instid0(VALU_DEP_2)
	v_dual_add_f32 v15, v109, v15 :: v_dual_add_f32 v38, v38, v34
	v_add_f32_e32 v34, v39, v31
	v_fma_f32 v39, 0x3f116cb1, v9, -v112
	v_fma_f32 v9, 0x3f62ad3f, v9, -v55
	v_add_f32_e32 v1, v42, v1
	v_dual_add_f32 v31, v113, v36 :: v_dual_add_f32 v36, v43, v38
	s_delay_alu instid0(VALU_DEP_4) | instskip(NEXT) | instid1(VALU_DEP_4)
	v_add_f32_e32 v33, v0, v39
	v_add_f32_e32 v0, v0, v9
	v_fma_f32 v9, 0x3f116cb1, v18, -v40
	v_fma_f32 v39, 0xbeb58ec6, v18, -v117
	;; [unrolled: 1-line block ×3, first 2 shown]
	v_add_f32_e32 v31, v118, v31
	ds_store_2addr_b64 v75, v[25:26], v[23:24] offset1:130
	v_add_f32_e32 v0, v9, v0
	v_fma_f32 v9, 0x3df6dbef, v11, -v44
	v_add_f32_e32 v18, v39, v33
	s_delay_alu instid0(VALU_DEP_2) | instskip(SKIP_1) | instid1(VALU_DEP_3)
	v_add_f32_e32 v0, v9, v0
	v_fma_f32 v9, 0xbeb58ec6, v12, -v46
	v_add_f32_e32 v11, v32, v18
	v_fma_f32 v12, 0x3df6dbef, v13, -v119
	s_delay_alu instid0(VALU_DEP_3) | instskip(NEXT) | instid1(VALU_DEP_1)
	v_dual_add_f32 v0, v9, v0 :: v_dual_add_nc_u32 v13, 0x2000, v75
	v_dual_add_f32 v11, v17, v11 :: v_dual_add_f32 v8, v8, v0
	s_delay_alu instid0(VALU_DEP_1)
	v_add_f32_e32 v9, v12, v11
	v_fma_f32 v11, 0x3f62ad3f, v14, -v124
	v_add_f32_e32 v12, v123, v1
	v_add_f32_e32 v14, v38, v36
	;; [unrolled: 1-line block ×3, first 2 shown]
	v_add_nc_u32_e32 v10, 0x800, v75
	v_dual_add_f32 v0, v11, v9 :: v_dual_add_nc_u32 v11, 0x1000, v75
	v_dual_add_f32 v9, v49, v12 :: v_dual_add_nc_u32 v12, 0x1800, v75
	v_add_f32_e32 v1, v121, v31
	ds_store_2addr_b64 v10, v[21:22], v[19:20] offset0:4 offset1:134
	ds_store_2addr_b64 v11, v[6:7], v[4:5] offset0:8 offset1:138
	;; [unrolled: 1-line block ×5, first 2 shown]
	ds_store_b64 v75, v[8:9] offset:12480
.LBB0_21:
	s_or_b32 exec_lo, exec_lo, s0
	s_waitcnt lgkmcnt(0)
	s_barrier
	buffer_gl0_inv
	s_and_b32 exec_lo, exec_lo, vcc_lo
	s_cbranch_execz .LBB0_23
; %bb.22:
	v_add_co_u32 v64, s0, s14, v75
	s_delay_alu instid0(VALU_DEP_1)
	v_add_co_ci_u32_e64 v65, null, s15, 0, s0
	s_clause 0x3
	global_load_b64 v[24:25], v75, s[14:15]
	global_load_b64 v[26:27], v75, s[14:15] offset:1040
	global_load_b64 v[28:29], v75, s[14:15] offset:2080
	;; [unrolled: 1-line block ×3, first 2 shown]
	v_add_co_u32 v0, vcc_lo, 0x1000, v64
	v_add_co_ci_u32_e32 v1, vcc_lo, 0, v65, vcc_lo
	v_add_co_u32 v2, vcc_lo, 0x2000, v64
	v_add_co_ci_u32_e32 v3, vcc_lo, 0, v65, vcc_lo
	s_clause 0x7
	global_load_b64 v[32:33], v[0:1], off offset:64
	global_load_b64 v[34:35], v[0:1], off offset:1104
	;; [unrolled: 1-line block ×8, first 2 shown]
	v_mad_u64_u32 v[8:9], null, s6, v68, 0
	v_mad_u64_u32 v[20:21], null, s4, v76, 0
	v_add_nc_u32_e32 v4, 0x400, v75
	v_add_nc_u32_e32 v5, 0xc00, v75
	ds_load_b64 v[48:49], v75
	v_dual_mov_b32 v0, v9 :: v_dual_add_nc_u32 v13, 0x1c00, v75
	v_dual_mov_b32 v1, v21 :: v_dual_add_nc_u32 v52, 0x2c00, v75
	s_mul_i32 s0, s5, 0x410
	s_mul_hi_u32 s1, s4, 0x410
	s_mul_i32 s2, s4, 0x410
	s_add_i32 s3, s1, s0
	v_mad_u64_u32 v[2:3], null, s7, v68, v[0:1]
	v_add_nc_u32_e32 v12, 0x1400, v75
	s_mov_b32 s0, 0x622898b1
	s_mov_b32 s1, 0x3f4363ac
	s_delay_alu instid0(VALU_DEP_2)
	v_mov_b32_e32 v9, v2
	v_mad_u64_u32 v[10:11], null, s5, v76, v[1:2]
	ds_load_2addr_b64 v[0:3], v4 offset0:2 offset1:132
	ds_load_2addr_b64 v[4:7], v5 offset0:6 offset1:136
	v_add_nc_u32_e32 v16, 0x2400, v75
	v_lshlrev_b64 v[22:23], 3, v[8:9]
	v_mov_b32_e32 v21, v10
	ds_load_2addr_b64 v[8:11], v12 offset0:10 offset1:140
	ds_load_2addr_b64 v[12:15], v13 offset0:14 offset1:144
	;; [unrolled: 1-line block ×3, first 2 shown]
	v_add_co_u32 v53, vcc_lo, s12, v22
	v_lshlrev_b64 v[50:51], 3, v[20:21]
	v_add_co_ci_u32_e32 v54, vcc_lo, s13, v23, vcc_lo
	ds_load_2addr_b64 v[20:23], v52 offset0:22 offset1:152
	v_add_co_u32 v50, vcc_lo, v53, v50
	v_add_co_ci_u32_e32 v51, vcc_lo, v54, v51, vcc_lo
	s_waitcnt vmcnt(11) lgkmcnt(6)
	v_mul_f32_e32 v52, v49, v25
	s_waitcnt vmcnt(9) lgkmcnt(5)
	v_dual_mul_f32 v53, v1, v27 :: v_dual_mul_f32 v54, v3, v29
	v_mul_f32_e32 v25, v48, v25
	v_mul_f32_e32 v27, v0, v27
	v_dual_mul_f32 v29, v2, v29 :: v_dual_fmac_f32 v52, v48, v24
	s_waitcnt vmcnt(8) lgkmcnt(4)
	v_mul_f32_e32 v55, v5, v31
	v_mul_f32_e32 v31, v4, v31
	s_waitcnt vmcnt(3) lgkmcnt(2)
	v_dual_fmac_f32 v53, v0, v26 :: v_dual_mul_f32 v56, v15, v41
	v_fmac_f32_e32 v54, v2, v28
	v_fma_f32 v24, v24, v49, -v25
	v_fma_f32 v25, v26, v1, -v27
	v_cvt_f64_f32_e32 v[0:1], v52
	v_dual_mul_f32 v52, v7, v33 :: v_dual_fmac_f32 v55, v4, v30
	s_waitcnt vmcnt(1) lgkmcnt(1)
	v_mul_f32_e32 v58, v19, v45
	v_mul_f32_e32 v33, v6, v33
	v_cvt_f64_f32_e32 v[26:27], v54
	v_mul_f32_e32 v54, v11, v37
	v_fma_f32 v48, v30, v5, -v31
	v_cvt_f64_f32_e32 v[4:5], v53
	v_dual_mul_f32 v53, v9, v35 :: v_dual_fmac_f32 v52, v6, v32
	s_delay_alu instid0(VALU_DEP_4)
	v_dual_mul_f32 v35, v8, v35 :: v_dual_fmac_f32 v54, v10, v36
	v_mul_f32_e32 v37, v10, v37
	v_fma_f32 v28, v28, v3, -v29
	v_cvt_f64_f32_e32 v[30:31], v55
	v_dual_mul_f32 v55, v13, v39 :: v_dual_fmac_f32 v56, v14, v40
	v_dual_mul_f32 v39, v12, v39 :: v_dual_fmac_f32 v58, v18, v44
	v_mul_f32_e32 v41, v14, v41
	v_mul_f32_e32 v57, v17, v43
	;; [unrolled: 1-line block ×3, first 2 shown]
	v_fma_f32 v32, v32, v7, -v33
	v_cvt_f64_f32_e32 v[2:3], v24
	v_mul_f32_e32 v45, v18, v45
	v_fmac_f32_e32 v53, v8, v34
	v_fma_f32 v33, v34, v9, -v35
	v_cvt_f64_f32_e32 v[24:25], v25
	s_waitcnt vmcnt(0) lgkmcnt(0)
	v_mul_f32_e32 v59, v21, v47
	v_mul_f32_e32 v47, v20, v47
	v_fma_f32 v34, v36, v11, -v37
	v_cvt_f64_f32_e32 v[28:29], v28
	v_fmac_f32_e32 v55, v12, v38
	v_fma_f32 v35, v38, v13, -v39
	v_cvt_f64_f32_e32 v[48:49], v48
	v_fma_f32 v36, v40, v15, -v41
	v_fmac_f32_e32 v57, v16, v42
	v_fma_f32 v38, v42, v17, -v43
	v_cvt_f64_f32_e32 v[6:7], v52
	v_cvt_f64_f32_e32 v[8:9], v32
	v_fma_f32 v42, v44, v19, -v45
	v_cvt_f64_f32_e32 v[10:11], v53
	v_cvt_f64_f32_e32 v[12:13], v33
	v_fmac_f32_e32 v59, v20, v46
	v_fma_f32 v46, v46, v21, -v47
	v_cvt_f64_f32_e32 v[14:15], v54
	v_cvt_f64_f32_e32 v[16:17], v34
	;; [unrolled: 1-line block ×12, first 2 shown]
	v_mul_f64 v[0:1], v[0:1], s[0:1]
	v_mul_f64 v[4:5], v[4:5], s[0:1]
	;; [unrolled: 1-line block ×5, first 2 shown]
	v_add_co_u32 v52, vcc_lo, v50, s2
	v_add_co_ci_u32_e32 v53, vcc_lo, s3, v51, vcc_lo
	v_mul_f64 v[24:25], v[24:25], s[0:1]
	s_delay_alu instid0(VALU_DEP_3) | instskip(SKIP_1) | instid1(VALU_DEP_4)
	v_add_co_u32 v54, vcc_lo, v52, s2
	v_mul_f64 v[28:29], v[28:29], s[0:1]
	v_add_co_ci_u32_e32 v55, vcc_lo, s3, v53, vcc_lo
	v_mul_f64 v[48:49], v[48:49], s[0:1]
	s_delay_alu instid0(VALU_DEP_4) | instskip(NEXT) | instid1(VALU_DEP_3)
	v_add_co_u32 v56, vcc_lo, v54, s2
	v_add_co_ci_u32_e32 v57, vcc_lo, s3, v55, vcc_lo
	v_mul_f64 v[6:7], v[6:7], s[0:1]
	v_mul_f64 v[8:9], v[8:9], s[0:1]
	;; [unrolled: 1-line block ×4, first 2 shown]
	v_add_co_u32 v58, vcc_lo, v56, s2
	v_mul_f64 v[14:15], v[14:15], s[0:1]
	v_mul_f64 v[16:17], v[16:17], s[0:1]
	v_mul_f64 v[18:19], v[18:19], s[0:1]
	v_mul_f64 v[20:21], v[20:21], s[0:1]
	v_mul_f64 v[32:33], v[32:33], s[0:1]
	v_mul_f64 v[34:35], v[34:35], s[0:1]
	v_mul_f64 v[36:37], v[36:37], s[0:1]
	v_mul_f64 v[38:39], v[38:39], s[0:1]
	v_mul_f64 v[40:41], v[40:41], s[0:1]
	v_mul_f64 v[42:43], v[42:43], s[0:1]
	v_mul_f64 v[44:45], v[44:45], s[0:1]
	v_mul_f64 v[46:47], v[46:47], s[0:1]
	v_cvt_f32_f64_e32 v0, v[0:1]
	v_add_co_ci_u32_e32 v59, vcc_lo, s3, v57, vcc_lo
	v_add_co_u32 v60, vcc_lo, v58, s2
	v_cvt_f32_f64_e32 v1, v[2:3]
	v_cvt_f32_f64_e32 v2, v[4:5]
	v_cvt_f32_f64_e32 v4, v[26:27]
	v_add_co_ci_u32_e32 v61, vcc_lo, s3, v59, vcc_lo
	v_cvt_f32_f64_e32 v3, v[24:25]
	v_cvt_f32_f64_e32 v24, v[30:31]
	;; [unrolled: 1-line block ×3, first 2 shown]
	v_add_co_u32 v62, vcc_lo, v60, s2
	v_cvt_f32_f64_e32 v25, v[48:49]
	v_add_co_ci_u32_e32 v63, vcc_lo, s3, v61, vcc_lo
	s_delay_alu instid0(VALU_DEP_3)
	v_add_co_u32 v26, vcc_lo, v62, s2
	v_cvt_f32_f64_e32 v6, v[6:7]
	v_cvt_f32_f64_e32 v7, v[8:9]
	;; [unrolled: 1-line block ×4, first 2 shown]
	v_add_co_ci_u32_e32 v27, vcc_lo, s3, v63, vcc_lo
	v_cvt_f32_f64_e32 v10, v[14:15]
	v_cvt_f32_f64_e32 v11, v[16:17]
	;; [unrolled: 1-line block ×12, first 2 shown]
	v_add_co_u32 v28, vcc_lo, v26, s2
	v_add_co_ci_u32_e32 v29, vcc_lo, s3, v27, vcc_lo
	s_delay_alu instid0(VALU_DEP_2) | instskip(NEXT) | instid1(VALU_DEP_2)
	v_add_co_u32 v30, vcc_lo, v28, s2
	v_add_co_ci_u32_e32 v31, vcc_lo, s3, v29, vcc_lo
	s_delay_alu instid0(VALU_DEP_2) | instskip(NEXT) | instid1(VALU_DEP_2)
	v_add_co_u32 v32, vcc_lo, v30, s2
	v_add_co_ci_u32_e32 v33, vcc_lo, s3, v31, vcc_lo
	v_add_co_u32 v34, vcc_lo, 0x3000, v64
	v_add_co_ci_u32_e32 v35, vcc_lo, 0, v65, vcc_lo
	s_delay_alu instid0(VALU_DEP_4) | instskip(NEXT) | instid1(VALU_DEP_4)
	v_add_co_u32 v36, vcc_lo, v32, s2
	v_add_co_ci_u32_e32 v37, vcc_lo, s3, v33, vcc_lo
	s_clause 0x4
	global_store_b64 v[50:51], v[0:1], off
	global_store_b64 v[52:53], v[2:3], off
	;; [unrolled: 1-line block ×12, first 2 shown]
	global_load_b64 v[0:1], v[34:35], off offset:192
	s_waitcnt vmcnt(0)
	v_mul_f32_e32 v2, v23, v1
	v_mul_f32_e32 v1, v22, v1
	s_delay_alu instid0(VALU_DEP_2) | instskip(NEXT) | instid1(VALU_DEP_2)
	v_fmac_f32_e32 v2, v22, v0
	v_fma_f32 v3, v0, v23, -v1
	s_delay_alu instid0(VALU_DEP_2) | instskip(NEXT) | instid1(VALU_DEP_2)
	v_cvt_f64_f32_e32 v[0:1], v2
	v_cvt_f64_f32_e32 v[2:3], v3
	s_delay_alu instid0(VALU_DEP_2) | instskip(NEXT) | instid1(VALU_DEP_2)
	v_mul_f64 v[0:1], v[0:1], s[0:1]
	v_mul_f64 v[2:3], v[2:3], s[0:1]
	s_delay_alu instid0(VALU_DEP_2) | instskip(NEXT) | instid1(VALU_DEP_2)
	v_cvt_f32_f64_e32 v0, v[0:1]
	v_cvt_f32_f64_e32 v1, v[2:3]
	v_add_co_u32 v2, vcc_lo, v36, s2
	v_add_co_ci_u32_e32 v3, vcc_lo, s3, v37, vcc_lo
	global_store_b64 v[2:3], v[0:1], off
.LBB0_23:
	s_nop 0
	s_sendmsg sendmsg(MSG_DEALLOC_VGPRS)
	s_endpgm
	.section	.rodata,"a",@progbits
	.p2align	6, 0x0
	.amdhsa_kernel bluestein_single_back_len1690_dim1_sp_op_CI_CI
		.amdhsa_group_segment_fixed_size 13520
		.amdhsa_private_segment_fixed_size 0
		.amdhsa_kernarg_size 104
		.amdhsa_user_sgpr_count 15
		.amdhsa_user_sgpr_dispatch_ptr 0
		.amdhsa_user_sgpr_queue_ptr 0
		.amdhsa_user_sgpr_kernarg_segment_ptr 1
		.amdhsa_user_sgpr_dispatch_id 0
		.amdhsa_user_sgpr_private_segment_size 0
		.amdhsa_wavefront_size32 1
		.amdhsa_uses_dynamic_stack 0
		.amdhsa_enable_private_segment 0
		.amdhsa_system_sgpr_workgroup_id_x 1
		.amdhsa_system_sgpr_workgroup_id_y 0
		.amdhsa_system_sgpr_workgroup_id_z 0
		.amdhsa_system_sgpr_workgroup_info 0
		.amdhsa_system_vgpr_workitem_id 0
		.amdhsa_next_free_vgpr 207
		.amdhsa_next_free_sgpr 16
		.amdhsa_reserve_vcc 1
		.amdhsa_float_round_mode_32 0
		.amdhsa_float_round_mode_16_64 0
		.amdhsa_float_denorm_mode_32 3
		.amdhsa_float_denorm_mode_16_64 3
		.amdhsa_dx10_clamp 1
		.amdhsa_ieee_mode 1
		.amdhsa_fp16_overflow 0
		.amdhsa_workgroup_processor_mode 1
		.amdhsa_memory_ordered 1
		.amdhsa_forward_progress 0
		.amdhsa_shared_vgpr_count 0
		.amdhsa_exception_fp_ieee_invalid_op 0
		.amdhsa_exception_fp_denorm_src 0
		.amdhsa_exception_fp_ieee_div_zero 0
		.amdhsa_exception_fp_ieee_overflow 0
		.amdhsa_exception_fp_ieee_underflow 0
		.amdhsa_exception_fp_ieee_inexact 0
		.amdhsa_exception_int_div_zero 0
	.end_amdhsa_kernel
	.text
.Lfunc_end0:
	.size	bluestein_single_back_len1690_dim1_sp_op_CI_CI, .Lfunc_end0-bluestein_single_back_len1690_dim1_sp_op_CI_CI
                                        ; -- End function
	.section	.AMDGPU.csdata,"",@progbits
; Kernel info:
; codeLenInByte = 19364
; NumSgprs: 18
; NumVgprs: 207
; ScratchSize: 0
; MemoryBound: 0
; FloatMode: 240
; IeeeMode: 1
; LDSByteSize: 13520 bytes/workgroup (compile time only)
; SGPRBlocks: 2
; VGPRBlocks: 25
; NumSGPRsForWavesPerEU: 18
; NumVGPRsForWavesPerEU: 207
; Occupancy: 7
; WaveLimiterHint : 1
; COMPUTE_PGM_RSRC2:SCRATCH_EN: 0
; COMPUTE_PGM_RSRC2:USER_SGPR: 15
; COMPUTE_PGM_RSRC2:TRAP_HANDLER: 0
; COMPUTE_PGM_RSRC2:TGID_X_EN: 1
; COMPUTE_PGM_RSRC2:TGID_Y_EN: 0
; COMPUTE_PGM_RSRC2:TGID_Z_EN: 0
; COMPUTE_PGM_RSRC2:TIDIG_COMP_CNT: 0
	.text
	.p2alignl 7, 3214868480
	.fill 96, 4, 3214868480
	.type	__hip_cuid_dec7166587d23abd,@object ; @__hip_cuid_dec7166587d23abd
	.section	.bss,"aw",@nobits
	.globl	__hip_cuid_dec7166587d23abd
__hip_cuid_dec7166587d23abd:
	.byte	0                               ; 0x0
	.size	__hip_cuid_dec7166587d23abd, 1

	.ident	"AMD clang version 19.0.0git (https://github.com/RadeonOpenCompute/llvm-project roc-6.4.0 25133 c7fe45cf4b819c5991fe208aaa96edf142730f1d)"
	.section	".note.GNU-stack","",@progbits
	.addrsig
	.addrsig_sym __hip_cuid_dec7166587d23abd
	.amdgpu_metadata
---
amdhsa.kernels:
  - .args:
      - .actual_access:  read_only
        .address_space:  global
        .offset:         0
        .size:           8
        .value_kind:     global_buffer
      - .actual_access:  read_only
        .address_space:  global
        .offset:         8
        .size:           8
        .value_kind:     global_buffer
      - .actual_access:  read_only
        .address_space:  global
        .offset:         16
        .size:           8
        .value_kind:     global_buffer
      - .actual_access:  read_only
        .address_space:  global
        .offset:         24
        .size:           8
        .value_kind:     global_buffer
      - .actual_access:  read_only
        .address_space:  global
        .offset:         32
        .size:           8
        .value_kind:     global_buffer
      - .offset:         40
        .size:           8
        .value_kind:     by_value
      - .address_space:  global
        .offset:         48
        .size:           8
        .value_kind:     global_buffer
      - .address_space:  global
        .offset:         56
        .size:           8
        .value_kind:     global_buffer
      - .address_space:  global
        .offset:         64
        .size:           8
        .value_kind:     global_buffer
      - .address_space:  global
        .offset:         72
        .size:           8
        .value_kind:     global_buffer
      - .offset:         80
        .size:           4
        .value_kind:     by_value
      - .address_space:  global
        .offset:         88
        .size:           8
        .value_kind:     global_buffer
      - .address_space:  global
        .offset:         96
        .size:           8
        .value_kind:     global_buffer
    .group_segment_fixed_size: 13520
    .kernarg_segment_align: 8
    .kernarg_segment_size: 104
    .language:       OpenCL C
    .language_version:
      - 2
      - 0
    .max_flat_workgroup_size: 169
    .name:           bluestein_single_back_len1690_dim1_sp_op_CI_CI
    .private_segment_fixed_size: 0
    .sgpr_count:     18
    .sgpr_spill_count: 0
    .symbol:         bluestein_single_back_len1690_dim1_sp_op_CI_CI.kd
    .uniform_work_group_size: 1
    .uses_dynamic_stack: false
    .vgpr_count:     207
    .vgpr_spill_count: 0
    .wavefront_size: 32
    .workgroup_processor_mode: 1
amdhsa.target:   amdgcn-amd-amdhsa--gfx1100
amdhsa.version:
  - 1
  - 2
...

	.end_amdgpu_metadata
